;; amdgpu-corpus repo=ROCm/rocFFT kind=compiled arch=gfx1100 opt=O3
	.text
	.amdgcn_target "amdgcn-amd-amdhsa--gfx1100"
	.amdhsa_code_object_version 6
	.protected	fft_rtc_fwd_len4000_factors_10_10_10_4_wgs_200_tpt_200_halfLds_half_op_CI_CI_unitstride_sbrr_R2C_dirReg ; -- Begin function fft_rtc_fwd_len4000_factors_10_10_10_4_wgs_200_tpt_200_halfLds_half_op_CI_CI_unitstride_sbrr_R2C_dirReg
	.globl	fft_rtc_fwd_len4000_factors_10_10_10_4_wgs_200_tpt_200_halfLds_half_op_CI_CI_unitstride_sbrr_R2C_dirReg
	.p2align	8
	.type	fft_rtc_fwd_len4000_factors_10_10_10_4_wgs_200_tpt_200_halfLds_half_op_CI_CI_unitstride_sbrr_R2C_dirReg,@function
fft_rtc_fwd_len4000_factors_10_10_10_4_wgs_200_tpt_200_halfLds_half_op_CI_CI_unitstride_sbrr_R2C_dirReg: ; @fft_rtc_fwd_len4000_factors_10_10_10_4_wgs_200_tpt_200_halfLds_half_op_CI_CI_unitstride_sbrr_R2C_dirReg
; %bb.0:
	s_clause 0x2
	s_load_b128 s[8:11], s[0:1], 0x0
	s_load_b128 s[4:7], s[0:1], 0x58
	;; [unrolled: 1-line block ×3, first 2 shown]
	v_mul_u32_u24_e32 v1, 0x148, v0
	v_dual_mov_b32 v3, 0 :: v_dual_mov_b32 v12, 0
	v_mov_b32_e32 v13, 0
	s_delay_alu instid0(VALU_DEP_3) | instskip(NEXT) | instid1(VALU_DEP_1)
	v_lshrrev_b32_e32 v1, 16, v1
	v_dual_mov_b32 v6, v3 :: v_dual_add_nc_u32 v5, s15, v1
	s_waitcnt lgkmcnt(0)
	v_cmp_lt_u64_e64 s2, s[10:11], 2
	s_delay_alu instid0(VALU_DEP_1)
	s_and_b32 vcc_lo, exec_lo, s2
	s_cbranch_vccnz .LBB0_8
; %bb.1:
	s_load_b64 s[2:3], s[0:1], 0x10
	v_mov_b32_e32 v12, 0
	v_mov_b32_e32 v13, 0
	s_add_u32 s12, s18, 8
	s_addc_u32 s13, s19, 0
	s_add_u32 s14, s16, 8
	s_delay_alu instid0(VALU_DEP_1)
	v_dual_mov_b32 v1, v12 :: v_dual_mov_b32 v2, v13
	s_addc_u32 s15, s17, 0
	s_mov_b64 s[22:23], 1
	s_waitcnt lgkmcnt(0)
	s_add_u32 s20, s2, 8
	s_addc_u32 s21, s3, 0
.LBB0_2:                                ; =>This Inner Loop Header: Depth=1
	s_load_b64 s[24:25], s[20:21], 0x0
                                        ; implicit-def: $vgpr7_vgpr8
	s_mov_b32 s2, exec_lo
	s_waitcnt lgkmcnt(0)
	v_or_b32_e32 v4, s25, v6
	s_delay_alu instid0(VALU_DEP_1)
	v_cmpx_ne_u64_e32 0, v[3:4]
	s_xor_b32 s3, exec_lo, s2
	s_cbranch_execz .LBB0_4
; %bb.3:                                ;   in Loop: Header=BB0_2 Depth=1
	v_cvt_f32_u32_e32 v4, s24
	v_cvt_f32_u32_e32 v7, s25
	s_sub_u32 s2, 0, s24
	s_subb_u32 s26, 0, s25
	s_delay_alu instid0(VALU_DEP_1) | instskip(NEXT) | instid1(VALU_DEP_1)
	v_fmac_f32_e32 v4, 0x4f800000, v7
	v_rcp_f32_e32 v4, v4
	s_waitcnt_depctr 0xfff
	v_mul_f32_e32 v4, 0x5f7ffffc, v4
	s_delay_alu instid0(VALU_DEP_1) | instskip(NEXT) | instid1(VALU_DEP_1)
	v_mul_f32_e32 v7, 0x2f800000, v4
	v_trunc_f32_e32 v7, v7
	s_delay_alu instid0(VALU_DEP_1) | instskip(SKIP_1) | instid1(VALU_DEP_2)
	v_fmac_f32_e32 v4, 0xcf800000, v7
	v_cvt_u32_f32_e32 v7, v7
	v_cvt_u32_f32_e32 v4, v4
	s_delay_alu instid0(VALU_DEP_2) | instskip(NEXT) | instid1(VALU_DEP_2)
	v_mul_lo_u32 v8, s2, v7
	v_mul_hi_u32 v9, s2, v4
	v_mul_lo_u32 v10, s26, v4
	s_delay_alu instid0(VALU_DEP_2) | instskip(SKIP_1) | instid1(VALU_DEP_2)
	v_add_nc_u32_e32 v8, v9, v8
	v_mul_lo_u32 v9, s2, v4
	v_add_nc_u32_e32 v8, v8, v10
	s_delay_alu instid0(VALU_DEP_2) | instskip(NEXT) | instid1(VALU_DEP_2)
	v_mul_hi_u32 v10, v4, v9
	v_mul_lo_u32 v11, v4, v8
	v_mul_hi_u32 v14, v4, v8
	v_mul_hi_u32 v15, v7, v9
	v_mul_lo_u32 v9, v7, v9
	v_mul_hi_u32 v16, v7, v8
	v_mul_lo_u32 v8, v7, v8
	v_add_co_u32 v10, vcc_lo, v10, v11
	v_add_co_ci_u32_e32 v11, vcc_lo, 0, v14, vcc_lo
	s_delay_alu instid0(VALU_DEP_2) | instskip(NEXT) | instid1(VALU_DEP_2)
	v_add_co_u32 v9, vcc_lo, v10, v9
	v_add_co_ci_u32_e32 v9, vcc_lo, v11, v15, vcc_lo
	v_add_co_ci_u32_e32 v10, vcc_lo, 0, v16, vcc_lo
	s_delay_alu instid0(VALU_DEP_2) | instskip(NEXT) | instid1(VALU_DEP_2)
	v_add_co_u32 v8, vcc_lo, v9, v8
	v_add_co_ci_u32_e32 v9, vcc_lo, 0, v10, vcc_lo
	s_delay_alu instid0(VALU_DEP_2) | instskip(NEXT) | instid1(VALU_DEP_2)
	v_add_co_u32 v4, vcc_lo, v4, v8
	v_add_co_ci_u32_e32 v7, vcc_lo, v7, v9, vcc_lo
	s_delay_alu instid0(VALU_DEP_2) | instskip(SKIP_1) | instid1(VALU_DEP_3)
	v_mul_hi_u32 v8, s2, v4
	v_mul_lo_u32 v10, s26, v4
	v_mul_lo_u32 v9, s2, v7
	s_delay_alu instid0(VALU_DEP_1) | instskip(SKIP_1) | instid1(VALU_DEP_2)
	v_add_nc_u32_e32 v8, v8, v9
	v_mul_lo_u32 v9, s2, v4
	v_add_nc_u32_e32 v8, v8, v10
	s_delay_alu instid0(VALU_DEP_2) | instskip(NEXT) | instid1(VALU_DEP_2)
	v_mul_hi_u32 v10, v4, v9
	v_mul_lo_u32 v11, v4, v8
	v_mul_hi_u32 v14, v4, v8
	v_mul_hi_u32 v15, v7, v9
	v_mul_lo_u32 v9, v7, v9
	v_mul_hi_u32 v16, v7, v8
	v_mul_lo_u32 v8, v7, v8
	v_add_co_u32 v10, vcc_lo, v10, v11
	v_add_co_ci_u32_e32 v11, vcc_lo, 0, v14, vcc_lo
	s_delay_alu instid0(VALU_DEP_2) | instskip(NEXT) | instid1(VALU_DEP_2)
	v_add_co_u32 v9, vcc_lo, v10, v9
	v_add_co_ci_u32_e32 v9, vcc_lo, v11, v15, vcc_lo
	v_add_co_ci_u32_e32 v10, vcc_lo, 0, v16, vcc_lo
	s_delay_alu instid0(VALU_DEP_2) | instskip(NEXT) | instid1(VALU_DEP_2)
	v_add_co_u32 v8, vcc_lo, v9, v8
	v_add_co_ci_u32_e32 v9, vcc_lo, 0, v10, vcc_lo
	s_delay_alu instid0(VALU_DEP_2) | instskip(NEXT) | instid1(VALU_DEP_2)
	v_add_co_u32 v4, vcc_lo, v4, v8
	v_add_co_ci_u32_e32 v11, vcc_lo, v7, v9, vcc_lo
	s_delay_alu instid0(VALU_DEP_2) | instskip(SKIP_1) | instid1(VALU_DEP_3)
	v_mul_hi_u32 v16, v5, v4
	v_mad_u64_u32 v[9:10], null, v6, v4, 0
	v_mad_u64_u32 v[7:8], null, v5, v11, 0
	;; [unrolled: 1-line block ×3, first 2 shown]
	s_delay_alu instid0(VALU_DEP_2) | instskip(NEXT) | instid1(VALU_DEP_3)
	v_add_co_u32 v4, vcc_lo, v16, v7
	v_add_co_ci_u32_e32 v7, vcc_lo, 0, v8, vcc_lo
	s_delay_alu instid0(VALU_DEP_2) | instskip(NEXT) | instid1(VALU_DEP_2)
	v_add_co_u32 v4, vcc_lo, v4, v9
	v_add_co_ci_u32_e32 v4, vcc_lo, v7, v10, vcc_lo
	v_add_co_ci_u32_e32 v7, vcc_lo, 0, v15, vcc_lo
	s_delay_alu instid0(VALU_DEP_2) | instskip(NEXT) | instid1(VALU_DEP_2)
	v_add_co_u32 v4, vcc_lo, v4, v14
	v_add_co_ci_u32_e32 v9, vcc_lo, 0, v7, vcc_lo
	s_delay_alu instid0(VALU_DEP_2) | instskip(SKIP_1) | instid1(VALU_DEP_3)
	v_mul_lo_u32 v10, s25, v4
	v_mad_u64_u32 v[7:8], null, s24, v4, 0
	v_mul_lo_u32 v11, s24, v9
	s_delay_alu instid0(VALU_DEP_2) | instskip(NEXT) | instid1(VALU_DEP_2)
	v_sub_co_u32 v7, vcc_lo, v5, v7
	v_add3_u32 v8, v8, v11, v10
	s_delay_alu instid0(VALU_DEP_1) | instskip(NEXT) | instid1(VALU_DEP_1)
	v_sub_nc_u32_e32 v10, v6, v8
	v_subrev_co_ci_u32_e64 v10, s2, s25, v10, vcc_lo
	v_add_co_u32 v11, s2, v4, 2
	s_delay_alu instid0(VALU_DEP_1) | instskip(SKIP_3) | instid1(VALU_DEP_3)
	v_add_co_ci_u32_e64 v14, s2, 0, v9, s2
	v_sub_co_u32 v15, s2, v7, s24
	v_sub_co_ci_u32_e32 v8, vcc_lo, v6, v8, vcc_lo
	v_subrev_co_ci_u32_e64 v10, s2, 0, v10, s2
	v_cmp_le_u32_e32 vcc_lo, s24, v15
	s_delay_alu instid0(VALU_DEP_3) | instskip(SKIP_1) | instid1(VALU_DEP_4)
	v_cmp_eq_u32_e64 s2, s25, v8
	v_cndmask_b32_e64 v15, 0, -1, vcc_lo
	v_cmp_le_u32_e32 vcc_lo, s25, v10
	v_cndmask_b32_e64 v16, 0, -1, vcc_lo
	v_cmp_le_u32_e32 vcc_lo, s24, v7
	;; [unrolled: 2-line block ×3, first 2 shown]
	v_cndmask_b32_e64 v17, 0, -1, vcc_lo
	v_cmp_eq_u32_e32 vcc_lo, s25, v10
	s_delay_alu instid0(VALU_DEP_2) | instskip(SKIP_3) | instid1(VALU_DEP_3)
	v_cndmask_b32_e64 v7, v17, v7, s2
	v_cndmask_b32_e32 v10, v16, v15, vcc_lo
	v_add_co_u32 v15, vcc_lo, v4, 1
	v_add_co_ci_u32_e32 v16, vcc_lo, 0, v9, vcc_lo
	v_cmp_ne_u32_e32 vcc_lo, 0, v10
	s_delay_alu instid0(VALU_DEP_2) | instskip(NEXT) | instid1(VALU_DEP_4)
	v_cndmask_b32_e32 v8, v16, v14, vcc_lo
	v_cndmask_b32_e32 v10, v15, v11, vcc_lo
	v_cmp_ne_u32_e32 vcc_lo, 0, v7
	s_delay_alu instid0(VALU_DEP_2)
	v_dual_cndmask_b32 v7, v4, v10 :: v_dual_cndmask_b32 v8, v9, v8
.LBB0_4:                                ;   in Loop: Header=BB0_2 Depth=1
	s_and_not1_saveexec_b32 s2, s3
	s_cbranch_execz .LBB0_6
; %bb.5:                                ;   in Loop: Header=BB0_2 Depth=1
	v_cvt_f32_u32_e32 v4, s24
	s_sub_i32 s3, 0, s24
	s_delay_alu instid0(VALU_DEP_1) | instskip(SKIP_2) | instid1(VALU_DEP_1)
	v_rcp_iflag_f32_e32 v4, v4
	s_waitcnt_depctr 0xfff
	v_mul_f32_e32 v4, 0x4f7ffffe, v4
	v_cvt_u32_f32_e32 v4, v4
	s_delay_alu instid0(VALU_DEP_1) | instskip(NEXT) | instid1(VALU_DEP_1)
	v_mul_lo_u32 v7, s3, v4
	v_mul_hi_u32 v7, v4, v7
	s_delay_alu instid0(VALU_DEP_1) | instskip(NEXT) | instid1(VALU_DEP_1)
	v_add_nc_u32_e32 v4, v4, v7
	v_mul_hi_u32 v4, v5, v4
	s_delay_alu instid0(VALU_DEP_1) | instskip(SKIP_1) | instid1(VALU_DEP_2)
	v_mul_lo_u32 v7, v4, s24
	v_add_nc_u32_e32 v8, 1, v4
	v_sub_nc_u32_e32 v7, v5, v7
	s_delay_alu instid0(VALU_DEP_1) | instskip(SKIP_1) | instid1(VALU_DEP_2)
	v_subrev_nc_u32_e32 v9, s24, v7
	v_cmp_le_u32_e32 vcc_lo, s24, v7
	v_dual_cndmask_b32 v7, v7, v9 :: v_dual_cndmask_b32 v4, v4, v8
	s_delay_alu instid0(VALU_DEP_1) | instskip(NEXT) | instid1(VALU_DEP_2)
	v_cmp_le_u32_e32 vcc_lo, s24, v7
	v_add_nc_u32_e32 v8, 1, v4
	s_delay_alu instid0(VALU_DEP_1)
	v_dual_cndmask_b32 v7, v4, v8 :: v_dual_mov_b32 v8, v3
.LBB0_6:                                ;   in Loop: Header=BB0_2 Depth=1
	s_or_b32 exec_lo, exec_lo, s2
	s_delay_alu instid0(VALU_DEP_1) | instskip(NEXT) | instid1(VALU_DEP_2)
	v_mul_lo_u32 v4, v8, s24
	v_mul_lo_u32 v11, v7, s25
	s_load_b64 s[2:3], s[14:15], 0x0
	v_mad_u64_u32 v[9:10], null, v7, s24, 0
	s_load_b64 s[24:25], s[12:13], 0x0
	s_add_u32 s22, s22, 1
	s_addc_u32 s23, s23, 0
	s_add_u32 s12, s12, 8
	s_addc_u32 s13, s13, 0
	s_add_u32 s14, s14, 8
	s_delay_alu instid0(VALU_DEP_1) | instskip(SKIP_3) | instid1(VALU_DEP_2)
	v_add3_u32 v4, v10, v11, v4
	v_sub_co_u32 v11, vcc_lo, v5, v9
	s_addc_u32 s15, s15, 0
	s_add_u32 s20, s20, 8
	v_sub_co_ci_u32_e32 v6, vcc_lo, v6, v4, vcc_lo
	s_addc_u32 s21, s21, 0
	s_waitcnt lgkmcnt(0)
	s_delay_alu instid0(VALU_DEP_1)
	v_mul_lo_u32 v14, s2, v6
	v_mul_lo_u32 v15, s3, v11
	v_mad_u64_u32 v[4:5], null, s2, v11, v[12:13]
	v_mul_lo_u32 v6, s24, v6
	v_mul_lo_u32 v16, s25, v11
	v_mad_u64_u32 v[9:10], null, s24, v11, v[1:2]
	v_cmp_ge_u64_e64 s2, s[22:23], s[10:11]
	v_add3_u32 v13, v15, v5, v14
	s_delay_alu instid0(VALU_DEP_3) | instskip(NEXT) | instid1(VALU_DEP_4)
	v_dual_mov_b32 v12, v4 :: v_dual_mov_b32 v1, v9
	v_add3_u32 v2, v16, v10, v6
	s_delay_alu instid0(VALU_DEP_4)
	s_and_b32 vcc_lo, exec_lo, s2
	s_cbranch_vccnz .LBB0_9
; %bb.7:                                ;   in Loop: Header=BB0_2 Depth=1
	v_dual_mov_b32 v5, v7 :: v_dual_mov_b32 v6, v8
	s_branch .LBB0_2
.LBB0_8:
	v_dual_mov_b32 v1, v12 :: v_dual_mov_b32 v2, v13
	v_dual_mov_b32 v8, v6 :: v_dual_mov_b32 v7, v5
.LBB0_9:
	s_load_b64 s[0:1], s[0:1], 0x28
	v_mul_hi_u32 v4, 0x147ae15, v0
	s_lshl_b64 s[10:11], s[10:11], 3
                                        ; implicit-def: $vgpr3
                                        ; implicit-def: $vgpr5
                                        ; implicit-def: $vgpr11
                                        ; implicit-def: $vgpr9
                                        ; implicit-def: $vgpr10
	s_delay_alu instid0(SALU_CYCLE_1) | instskip(SKIP_4) | instid1(VALU_DEP_1)
	s_add_u32 s2, s18, s10
	s_addc_u32 s3, s19, s11
	s_waitcnt lgkmcnt(0)
	v_cmp_gt_u64_e32 vcc_lo, s[0:1], v[7:8]
	v_cmp_le_u64_e64 s0, s[0:1], v[7:8]
	s_and_saveexec_b32 s1, s0
	s_delay_alu instid0(SALU_CYCLE_1)
	s_xor_b32 s0, exec_lo, s1
; %bb.10:
	v_mul_u32_u24_e32 v3, 0xc8, v4
                                        ; implicit-def: $vgpr4
                                        ; implicit-def: $vgpr12_vgpr13
	s_delay_alu instid0(VALU_DEP_1) | instskip(NEXT) | instid1(VALU_DEP_1)
	v_sub_nc_u32_e32 v3, v0, v3
                                        ; implicit-def: $vgpr0
	v_add_nc_u32_e32 v5, 0xc8, v3
	v_add_nc_u32_e32 v11, 0x190, v3
	;; [unrolled: 1-line block ×4, first 2 shown]
; %bb.11:
	s_and_not1_saveexec_b32 s1, s0
	s_cbranch_execz .LBB0_13
; %bb.12:
	s_add_u32 s10, s16, s10
	s_addc_u32 s11, s17, s11
	s_load_b64 s[10:11], s[10:11], 0x0
	s_waitcnt lgkmcnt(0)
	v_mul_lo_u32 v3, s11, v7
	v_mul_lo_u32 v9, s10, v8
	v_mad_u64_u32 v[5:6], null, s10, v7, 0
	s_delay_alu instid0(VALU_DEP_1) | instskip(SKIP_2) | instid1(VALU_DEP_3)
	v_add3_u32 v6, v6, v9, v3
	v_mul_u32_u24_e32 v3, 0xc8, v4
	v_lshlrev_b64 v[9:10], 2, v[12:13]
	v_lshlrev_b64 v[4:5], 2, v[5:6]
	s_delay_alu instid0(VALU_DEP_3) | instskip(NEXT) | instid1(VALU_DEP_1)
	v_sub_nc_u32_e32 v3, v0, v3
	v_lshlrev_b32_e32 v6, 2, v3
	s_delay_alu instid0(VALU_DEP_3) | instskip(NEXT) | instid1(VALU_DEP_1)
	v_add_co_u32 v0, s0, s4, v4
	v_add_co_ci_u32_e64 v4, s0, s5, v5, s0
	s_delay_alu instid0(VALU_DEP_2) | instskip(NEXT) | instid1(VALU_DEP_1)
	v_add_co_u32 v0, s0, v0, v9
	v_add_co_ci_u32_e64 v5, s0, v4, v10, s0
	s_delay_alu instid0(VALU_DEP_2) | instskip(NEXT) | instid1(VALU_DEP_1)
	v_add_co_u32 v4, s0, v0, v6
	v_add_co_ci_u32_e64 v5, s0, 0, v5, s0
	v_add_nc_u32_e32 v6, 0, v6
	s_delay_alu instid0(VALU_DEP_3) | instskip(NEXT) | instid1(VALU_DEP_1)
	v_add_co_u32 v9, s0, 0x1000, v4
	v_add_co_ci_u32_e64 v10, s0, 0, v5, s0
	v_add_co_u32 v11, s0, 0x2000, v4
	s_delay_alu instid0(VALU_DEP_1) | instskip(SKIP_1) | instid1(VALU_DEP_1)
	v_add_co_ci_u32_e64 v12, s0, 0, v5, s0
	v_add_co_u32 v13, s0, 0x3000, v4
	v_add_co_ci_u32_e64 v14, s0, 0, v5, s0
	s_clause 0x13
	global_load_b32 v0, v[4:5], off
	global_load_b32 v15, v[4:5], off offset:800
	global_load_b32 v16, v[4:5], off offset:1600
	;; [unrolled: 1-line block ×19, first 2 shown]
	v_add_nc_u32_e32 v5, 0xc8, v3
	v_add_nc_u32_e32 v11, 0x190, v3
	;; [unrolled: 1-line block ×13, first 2 shown]
	s_waitcnt vmcnt(18)
	ds_store_2addr_b32 v6, v0, v15 offset1:200
	s_waitcnt vmcnt(16)
	ds_store_2addr_b32 v14, v16, v17 offset0:16 offset1:216
	s_waitcnt vmcnt(14)
	ds_store_2addr_b32 v31, v18, v4 offset0:32 offset1:232
	;; [unrolled: 2-line block ×3, first 2 shown]
	s_waitcnt vmcnt(10)
	ds_store_2addr_b32 v33, v21, v22 offset1:200
	s_waitcnt vmcnt(8)
	ds_store_2addr_b32 v34, v23, v24 offset0:16 offset1:216
	s_waitcnt vmcnt(6)
	ds_store_2addr_b32 v35, v25, v26 offset0:32 offset1:232
	;; [unrolled: 2-line block ×3, first 2 shown]
	s_waitcnt vmcnt(2)
	ds_store_2addr_b32 v37, v28, v29 offset1:200
	s_waitcnt vmcnt(0)
	ds_store_2addr_b32 v38, v30, v13 offset0:16 offset1:216
.LBB0_13:
	s_or_b32 exec_lo, exec_lo, s1
	v_lshlrev_b32_e32 v4, 2, v3
	s_load_b64 s[2:3], s[2:3], 0x0
	s_waitcnt lgkmcnt(0)
	s_barrier
	buffer_gl0_inv
	v_add_nc_u32_e32 v0, 0, v4
	v_mul_i32_i24_e32 v6, 10, v5
	v_cmp_gt_u32_e64 s0, 0x64, v3
	s_add_u32 s1, s8, 0x3e58
	s_addc_u32 s4, s9, 0
	v_add_nc_u32_e32 v12, 0x1900, v0
	v_add_nc_u32_e32 v13, 0x2500, v0
	;; [unrolled: 1-line block ×4, first 2 shown]
	ds_load_2addr_b32 v[20:21], v0 offset1:200
	ds_load_2addr_b32 v[22:23], v12 offset1:200
	ds_load_2addr_b32 v[24:25], v13 offset0:32 offset1:232
	ds_load_2addr_b32 v[26:27], v14 offset0:32 offset1:232
	ds_load_2addr_b32 v[28:29], v15 offset1:200
	v_add_nc_u32_e32 v12, 0x600, v0
	v_add_nc_u32_e32 v13, 0x1200, v0
	;; [unrolled: 1-line block ×5, first 2 shown]
	ds_load_2addr_b32 v[30:31], v12 offset0:16 offset1:216
	ds_load_2addr_b32 v[32:33], v13 offset0:48 offset1:248
	;; [unrolled: 1-line block ×5, first 2 shown]
	v_lshl_add_u32 v18, v6, 2, 0
	v_mad_u32_u24 v6, v3, 36, v0
	s_waitcnt lgkmcnt(0)
	s_barrier
	buffer_gl0_inv
	s_mov_b32 s5, exec_lo
	v_lshrrev_b32_e32 v34, 16, v21
	v_lshrrev_b32_e32 v37, 16, v23
	v_add_f16_e32 v19, v23, v25
	v_lshrrev_b32_e32 v38, 16, v25
	v_add_f16_e32 v41, v27, v29
	v_lshrrev_b32_e32 v35, 16, v27
	v_lshrrev_b32_e32 v36, 16, v29
	v_sub_f16_e32 v42, v25, v29
	v_sub_f16_e32 v43, v23, v27
	v_fma_f16 v44, -0.5, v19, v21
	v_pk_add_f16 v45, v21, v27
	v_sub_f16_e32 v46, v37, v38
	v_fma_f16 v21, -0.5, v41, v21
	v_sub_f16_e32 v39, v29, v25
	v_sub_f16_e32 v40, v27, v23
	;; [unrolled: 1-line block ×3, first 2 shown]
	v_add_f16_e32 v41, v43, v42
	v_fmamk_f16 v42, v46, 0xbb9c, v21
	v_fmac_f16_e32 v21, 0x3b9c, v46
	v_add_f16_e32 v39, v40, v39
	v_fmamk_f16 v40, v19, 0x3b9c, v44
	v_fmac_f16_e32 v44, 0xbb9c, v19
	v_add_f16_e32 v43, v37, v38
	v_fmac_f16_e32 v42, 0x38b4, v19
	v_fmac_f16_e32 v21, 0xb8b4, v19
	;; [unrolled: 1-line block ×4, first 2 shown]
	v_pk_add_f16 v19, v45, v23
	v_fma_f16 v43, -0.5, v43, v34
	v_sub_f16_e32 v27, v27, v29
	v_fmac_f16_e32 v42, 0x34f2, v41
	v_fmac_f16_e32 v21, 0x34f2, v41
	v_add_f16_e32 v41, v35, v36
	v_fmac_f16_e32 v40, 0x34f2, v39
	v_fmac_f16_e32 v44, 0x34f2, v39
	v_pk_add_f16 v19, v19, v25
	v_fmamk_f16 v39, v27, 0xbb9c, v43
	v_sub_f16_e32 v23, v23, v25
	v_sub_f16_e32 v25, v35, v37
	;; [unrolled: 1-line block ×3, first 2 shown]
	v_fmac_f16_e32 v43, 0x3b9c, v27
	v_fmac_f16_e32 v34, -0.5, v41
	v_sub_f16_e32 v35, v37, v35
	v_sub_f16_e32 v36, v38, v36
	v_pk_add_f16 v19, v19, v29
	v_fmac_f16_e32 v39, 0xb8b4, v23
	v_add_f16_e32 v25, v25, v45
	v_fmac_f16_e32 v43, 0x38b4, v23
	v_fmamk_f16 v29, v23, 0x3b9c, v34
	v_add_f16_e32 v41, v17, v15
	v_lshrrev_b32_e32 v45, 16, v33
	v_lshrrev_b32_e32 v46, 16, v13
	;; [unrolled: 1-line block ×4, first 2 shown]
	v_fmac_f16_e32 v34, 0xbb9c, v23
	v_add_f16_e32 v35, v35, v36
	v_add_f16_e32 v36, v33, v13
	v_fmac_f16_e32 v39, 0x34f2, v25
	v_fmac_f16_e32 v43, 0x34f2, v25
	;; [unrolled: 1-line block ×3, first 2 shown]
	v_fma_f16 v25, -0.5, v41, v31
	v_sub_f16_e32 v41, v45, v46
	v_sub_f16_e32 v37, v47, v48
	;; [unrolled: 1-line block ×4, first 2 shown]
	v_fmac_f16_e32 v34, 0x38b4, v27
	v_fma_f16 v36, -0.5, v36, v31
	v_fmamk_f16 v23, v41, 0x3b9c, v25
	v_fmac_f16_e32 v25, 0xbb9c, v41
	v_add_f16_e32 v27, v49, v38
	v_fmac_f16_e32 v29, 0x34f2, v35
	v_fmac_f16_e32 v34, 0x34f2, v35
	v_fmamk_f16 v35, v37, 0xbb9c, v36
	v_sub_f16_e32 v38, v15, v13
	v_sub_f16_e32 v49, v17, v33
	v_fmac_f16_e32 v36, 0x3b9c, v37
	v_fmac_f16_e32 v23, 0x38b4, v37
	;; [unrolled: 1-line block ×3, first 2 shown]
	v_add_f16_e32 v37, v47, v48
	v_lshrrev_b32_e32 v50, 16, v31
	v_fmac_f16_e32 v35, 0x38b4, v41
	v_add_f16_e32 v38, v49, v38
	v_fmac_f16_e32 v36, 0xb8b4, v41
	v_add_f16_e32 v41, v45, v46
	v_fmac_f16_e32 v23, 0x34f2, v27
	v_fmac_f16_e32 v25, 0x34f2, v27
	v_fma_f16 v27, -0.5, v37, v50
	v_sub_f16_e32 v37, v33, v13
	v_fmac_f16_e32 v35, 0x34f2, v38
	v_pk_add_f16 v31, v31, v33
	v_fmac_f16_e32 v36, 0x34f2, v38
	v_sub_f16_e32 v38, v17, v15
	v_fmac_f16_e32 v50, -0.5, v41
	v_fmamk_f16 v33, v37, 0xbb9c, v27
	v_pk_add_f16 v17, v31, v17
	v_sub_f16_e32 v31, v45, v47
	v_sub_f16_e32 v41, v46, v48
	v_fmamk_f16 v49, v38, 0x3b9c, v50
	v_sub_f16_e32 v45, v47, v45
	v_sub_f16_e32 v46, v48, v46
	v_fmac_f16_e32 v27, 0x3b9c, v37
	v_fmac_f16_e32 v50, 0xbb9c, v38
	v_fmac_f16_e32 v33, 0xb8b4, v38
	v_add_f16_e32 v31, v31, v41
	v_fmac_f16_e32 v49, 0xb8b4, v37
	v_add_f16_e32 v41, v45, v46
	v_fmac_f16_e32 v27, 0x38b4, v38
	v_fmac_f16_e32 v50, 0x38b4, v37
	;; [unrolled: 1-line block ×3, first 2 shown]
	v_mul_f16_e32 v37, 0x3a79, v23
	v_fmac_f16_e32 v49, 0x34f2, v41
	v_fmac_f16_e32 v27, 0x34f2, v31
	;; [unrolled: 1-line block ×3, first 2 shown]
	v_mul_f16_e32 v38, 0x3a79, v25
	v_mul_f16_e32 v23, 0xb8b4, v23
	v_pk_add_f16 v15, v17, v15
	v_fmac_f16_e32 v37, 0x38b4, v33
	v_mul_f16_e32 v17, 0x3b9c, v49
	v_mul_f16_e32 v31, 0x34f2, v36
	v_fma_f16 v38, v27, 0x38b4, -v38
	v_fmac_f16_e32 v23, 0x3a79, v33
	v_mul_f16_e32 v33, 0x34f2, v50
	v_mul_f16_e32 v27, 0x3a79, v27
	v_fmac_f16_e32 v17, 0x34f2, v35
	v_fma_f16 v31, v50, 0x3b9c, -v31
	v_mul_f16_e32 v35, 0xbb9c, v35
	v_fma_f16 v33, v36, 0xbb9c, -v33
	v_fma_f16 v25, v25, 0xb8b4, -v27
	v_add_f16_e32 v27, v22, v24
	v_lshrrev_b32_e32 v36, 16, v26
	v_lshrrev_b32_e32 v50, 16, v28
	v_pk_add_f16 v13, v15, v13
	v_add_f16_e32 v15, v40, v37
	v_add_f16_e32 v45, v21, v31
	;; [unrolled: 1-line block ×3, first 2 shown]
	v_fmac_f16_e32 v35, 0x34f2, v49
	v_sub_f16_e32 v37, v40, v37
	v_fma_f16 v27, -0.5, v27, v20
	v_sub_f16_e32 v40, v36, v50
	v_lshrrev_b32_e32 v53, 16, v22
	v_lshrrev_b32_e32 v54, 16, v24
	v_sub_f16_e32 v21, v21, v31
	v_sub_f16_e32 v31, v44, v38
	;; [unrolled: 1-line block ×4, first 2 shown]
	v_add_f16_e32 v56, v26, v28
	v_add_f16_e32 v41, v42, v17
	;; [unrolled: 1-line block ×4, first 2 shown]
	v_sub_f16_e32 v17, v42, v17
	v_fmamk_f16 v38, v40, 0x3b9c, v27
	v_sub_f16_e32 v42, v53, v54
	v_sub_f16_e32 v23, v39, v23
	;; [unrolled: 1-line block ×3, first 2 shown]
	v_add_f16_e32 v35, v55, v44
	v_fma_f16 v39, -0.5, v56, v20
	v_fmac_f16_e32 v27, 0xbb9c, v40
	v_add_f16_e32 v55, v53, v54
	v_lshrrev_b32_e32 v56, 16, v20
	v_add_f16_e32 v51, v34, v33
	v_add_f16_e32 v52, v43, v25
	v_fmac_f16_e32 v38, 0x38b4, v42
	v_sub_f16_e32 v33, v34, v33
	v_sub_f16_e32 v25, v43, v25
	v_fmamk_f16 v34, v42, 0xbb9c, v39
	v_sub_f16_e32 v43, v24, v28
	v_sub_f16_e32 v44, v22, v26
	v_fmac_f16_e32 v27, 0xb8b4, v42
	v_fmac_f16_e32 v39, 0x3b9c, v42
	v_pk_add_f16 v20, v20, v26
	v_fma_f16 v42, -0.5, v55, v56
	v_sub_f16_e32 v26, v26, v28
	v_fmac_f16_e32 v38, 0x34f2, v35
	v_fmac_f16_e32 v34, 0x38b4, v40
	v_add_f16_e32 v43, v44, v43
	v_fmac_f16_e32 v27, 0x34f2, v35
	v_fmac_f16_e32 v39, 0xb8b4, v40
	v_pk_add_f16 v20, v20, v22
	v_fmamk_f16 v35, v26, 0xbb9c, v42
	v_sub_f16_e32 v22, v22, v24
	v_sub_f16_e32 v40, v36, v53
	;; [unrolled: 1-line block ×3, first 2 shown]
	v_fmac_f16_e32 v42, 0x3b9c, v26
	v_pk_add_f16 v20, v20, v24
	v_fmac_f16_e32 v35, 0xb8b4, v22
	v_fmac_f16_e32 v34, 0x34f2, v43
	v_add_f16_e32 v24, v40, v44
	v_fmac_f16_e32 v42, 0x38b4, v22
	v_add_f16_e32 v55, v36, v50
	v_fmac_f16_e32 v39, 0x34f2, v43
	v_lshrrev_b32_e32 v40, 16, v32
	v_fmac_f16_e32 v35, 0x34f2, v24
	v_fmac_f16_e32 v42, 0x34f2, v24
	v_add_f16_e32 v24, v16, v14
	v_lshrrev_b32_e32 v43, 16, v12
	v_fmac_f16_e32 v56, -0.5, v55
	v_sub_f16_e32 v36, v53, v36
	v_sub_f16_e32 v44, v54, v50
	v_fma_f16 v24, -0.5, v24, v30
	v_sub_f16_e32 v50, v40, v43
	v_lshrrev_b32_e32 v53, 16, v16
	v_lshrrev_b32_e32 v54, 16, v14
	v_pk_add_f16 v20, v20, v28
	v_fmamk_f16 v28, v22, 0x3b9c, v56
	v_add_f16_e32 v36, v36, v44
	v_fmac_f16_e32 v56, 0xbb9c, v22
	v_fmamk_f16 v22, v50, 0x3b9c, v24
	v_add_f16_e32 v44, v32, v12
	v_sub_f16_e32 v55, v53, v54
	v_sub_f16_e32 v57, v12, v14
	;; [unrolled: 1-line block ×3, first 2 shown]
	v_fmac_f16_e32 v24, 0xbb9c, v50
	v_fmac_f16_e32 v28, 0xb8b4, v26
	v_fma_f16 v44, -0.5, v44, v30
	v_fmac_f16_e32 v56, 0x38b4, v26
	v_fmac_f16_e32 v22, 0x38b4, v55
	v_add_f16_e32 v26, v58, v57
	v_sub_f16_e32 v58, v14, v12
	v_sub_f16_e32 v59, v16, v32
	v_fmac_f16_e32 v24, 0xb8b4, v55
	v_fmac_f16_e32 v28, 0x34f2, v36
	v_fmamk_f16 v57, v55, 0xbb9c, v44
	v_fmac_f16_e32 v56, 0x34f2, v36
	v_fmac_f16_e32 v22, 0x34f2, v26
	v_add_f16_e32 v36, v59, v58
	v_fmac_f16_e32 v44, 0x3b9c, v55
	v_add_f16_e32 v55, v53, v54
	v_lshrrev_b32_e32 v58, 16, v30
	v_fmac_f16_e32 v24, 0x34f2, v26
	v_add_f16_e32 v26, v40, v43
	v_fmac_f16_e32 v57, 0x38b4, v50
	v_fmac_f16_e32 v44, 0xb8b4, v50
	v_fma_f16 v50, -0.5, v55, v58
	v_sub_f16_e32 v55, v32, v12
	v_sub_f16_e32 v59, v16, v14
	v_fmac_f16_e32 v58, -0.5, v26
	v_fmac_f16_e32 v57, 0x34f2, v36
	v_fmac_f16_e32 v44, 0x34f2, v36
	v_pk_add_f16 v26, v30, v32
	v_fmamk_f16 v30, v55, 0xbb9c, v50
	v_sub_f16_e32 v32, v40, v53
	v_fmamk_f16 v36, v59, 0x3b9c, v58
	v_sub_f16_e32 v40, v53, v40
	v_sub_f16_e32 v53, v54, v43
	;; [unrolled: 1-line block ×3, first 2 shown]
	v_fmac_f16_e32 v50, 0x3b9c, v55
	v_fmac_f16_e32 v30, 0xb8b4, v59
	;; [unrolled: 1-line block ×4, first 2 shown]
	v_add_f16_e32 v40, v40, v53
	v_add_f16_e32 v32, v32, v43
	v_fmac_f16_e32 v50, 0x38b4, v59
	v_fmac_f16_e32 v58, 0x38b4, v55
	v_pk_add_f16 v16, v26, v16
	v_fmac_f16_e32 v36, 0x34f2, v40
	v_fmac_f16_e32 v30, 0x34f2, v32
	;; [unrolled: 1-line block ×3, first 2 shown]
	v_mul_f16_e32 v32, 0x3a79, v24
	v_fmac_f16_e32 v58, 0x34f2, v40
	v_mul_f16_e32 v40, 0x3b9c, v36
	v_mul_f16_e32 v26, 0x3a79, v22
	v_pk_add_f16 v14, v16, v14
	v_fma_f16 v32, v50, 0x38b4, -v32
	v_mul_f16_e32 v22, 0xb8b4, v22
	v_fmac_f16_e32 v40, 0x34f2, v57
	v_mul_f16_e32 v54, 0xbb9c, v57
	v_mul_f16_e32 v50, 0x3a79, v50
	v_add_f16_e32 v57, v27, v32
	v_sub_f16_e32 v27, v27, v32
	v_and_b32_e32 v32, 0xff, v3
	v_mul_f16_e32 v43, 0x34f2, v44
	v_mul_f16_e32 v55, 0x34f2, v58
	v_fmac_f16_e32 v26, 0x38b4, v30
	v_pk_add_f16 v12, v14, v12
	v_fmac_f16_e32 v22, 0x3a79, v30
	v_fma_f16 v24, v24, 0xb8b4, -v50
	v_mul_lo_u16 v32, 0xcd, v32
	v_fma_f16 v16, v58, 0x3b9c, -v43
	v_fmac_f16_e32 v54, 0x34f2, v36
	v_fma_f16 v30, v44, 0xbb9c, -v55
	v_add_f16_e32 v14, v38, v26
	v_pk_add_f16 v36, v20, v12
	v_add_f16_e32 v44, v35, v22
	v_add_f16_e32 v58, v42, v24
	v_sub_f16_e32 v24, v42, v24
	v_pk_add_f16 v20, v20, v12 neg_lo:[0,1] neg_hi:[0,1]
	v_lshrrev_b16 v12, 11, v32
	v_add_f16_e32 v43, v34, v40
	v_add_f16_e32 v53, v39, v16
	;; [unrolled: 1-line block ×4, first 2 shown]
	v_sub_f16_e32 v26, v38, v26
	v_sub_f16_e32 v34, v34, v40
	;; [unrolled: 1-line block ×6, first 2 shown]
	v_pack_b32_f16 v14, v14, v44
	v_pack_b32_f16 v24, v27, v24
	v_mul_lo_u16 v27, v12, 10
	v_pack_b32_f16 v35, v53, v55
	v_pack_b32_f16 v38, v43, v50
	;; [unrolled: 1-line block ×6, first 2 shown]
	ds_store_2addr_b32 v6, v36, v14 offset1:1
	ds_store_2addr_b32 v6, v38, v35 offset0:2 offset1:3
	ds_store_2addr_b32 v6, v39, v20 offset0:4 offset1:5
	;; [unrolled: 1-line block ×4, first 2 shown]
	v_sub_nc_u16 v14, v3, v27
	v_pk_add_f16 v47, v19, v13
	v_pk_add_f16 v19, v19, v13 neg_lo:[0,1] neg_hi:[0,1]
	v_pack_b32_f16 v6, v15, v48
	v_pack_b32_f16 v15, v45, v51
	v_and_b32_e32 v13, 0xff, v14
	v_pack_b32_f16 v14, v37, v23
	v_pack_b32_f16 v16, v41, v49
	;; [unrolled: 1-line block ×4, first 2 shown]
	v_mul_u32_u24_e32 v23, 9, v13
	v_pack_b32_f16 v22, v31, v25
	v_pack_b32_f16 v21, v21, v33
	ds_store_2addr_b32 v18, v47, v6 offset1:1
	ds_store_2addr_b32 v18, v16, v15 offset0:2 offset1:3
	ds_store_2addr_b32 v18, v20, v19 offset0:4 offset1:5
	;; [unrolled: 1-line block ×3, first 2 shown]
	v_and_b32_e32 v14, 0xffff, v5
	v_lshlrev_b32_e32 v6, 2, v23
	v_add_nc_u32_e32 v19, 0x1580, v0
	ds_store_2addr_b32 v18, v21, v22 offset0:8 offset1:9
	s_waitcnt lgkmcnt(0)
	s_barrier
	buffer_gl0_inv
	s_clause 0x1
	global_load_b128 v[28:31], v6, s[8:9]
	global_load_b128 v[32:35], v6, s[8:9] offset:16
	v_mul_u32_u24_e32 v14, 0xcccd, v14
	global_load_b32 v58, v6, s[8:9] offset:32
	v_add_nc_u32_e32 v21, 0x2200, v0
	v_lshl_add_u32 v16, v9, 2, 0
	v_add_nc_u32_e32 v20, 0x2800, v0
	v_lshrrev_b32_e32 v24, 19, v14
	v_lshl_add_u32 v17, v11, 2, 0
	v_add_nc_u32_e32 v23, 0x2e80, v0
	v_add_nc_u32_e32 v22, 0x3500, v0
	;; [unrolled: 1-line block ×3, first 2 shown]
	v_mul_lo_u16 v14, v24, 10
	v_and_b32_e32 v12, 0xffff, v12
	v_lshlrev_b32_e32 v13, 2, v13
	v_mul_u32_u24_e32 v24, 0x190, v24
	s_delay_alu instid0(VALU_DEP_4) | instskip(NEXT) | instid1(VALU_DEP_4)
	v_sub_nc_u16 v14, v5, v14
	v_mul_u32_u24_e32 v12, 0x190, v12
	s_delay_alu instid0(VALU_DEP_2) | instskip(NEXT) | instid1(VALU_DEP_2)
	v_and_b32_e32 v25, 0xffff, v14
	v_add3_u32 v12, 0, v12, v13
	s_delay_alu instid0(VALU_DEP_2) | instskip(SKIP_1) | instid1(VALU_DEP_2)
	v_mul_u32_u24_e32 v14, 9, v25
	v_lshlrev_b32_e32 v25, 2, v25
	v_lshlrev_b32_e32 v6, 2, v14
	s_clause 0x2
	global_load_b128 v[36:39], v6, s[8:9]
	global_load_b128 v[40:43], v6, s[8:9] offset:16
	global_load_b32 v59, v6, s[8:9] offset:32
	v_add_nc_u32_e32 v14, 0x1c00, v0
	v_mad_i32_i24 v6, 0xffffffdc, v5, v18
	ds_load_b32 v60, v0
	ds_load_2addr_b32 v[44:45], v19 offset0:24 offset1:224
	ds_load_2addr_b32 v[46:47], v14 offset0:8 offset1:208
	;; [unrolled: 1-line block ×6, first 2 shown]
	ds_load_b32 v26, v6
	ds_load_b32 v61, v0 offset:2400
	ds_load_2addr_b32 v[56:57], v15 offset0:40 offset1:240
	ds_load_b32 v62, v16
	ds_load_b32 v63, v17
	ds_load_b32 v64, v0 offset:15200
	s_waitcnt vmcnt(0) lgkmcnt(0)
	s_barrier
	buffer_gl0_inv
	v_lshrrev_b32_e32 v68, 16, v49
	v_lshrrev_b32_e32 v69, 16, v51
	;; [unrolled: 1-line block ×24, first 2 shown]
	s_delay_alu instid0(VALU_DEP_4) | instskip(SKIP_3) | instid1(VALU_DEP_4)
	v_mul_f16_e32 v86, v80, v81
	v_mul_f16_e32 v80, v80, v63
	;; [unrolled: 1-line block ×4, first 2 shown]
	v_fma_f16 v63, v28, v63, -v86
	s_delay_alu instid0(VALU_DEP_4)
	v_fmac_f16_e32 v80, v28, v81
	v_mul_f16_e32 v28, v84, v88
	v_fma_f16 v62, v29, v62, -v89
	v_fmac_f16_e32 v83, v29, v85
	v_mul_f16_e32 v29, v66, v87
	v_mul_f16_e32 v81, v84, v57
	v_fma_f16 v57, v30, v57, -v28
	v_mul_f16_e32 v84, v45, v87
	v_lshrrev_b32_e32 v28, 16, v32
	v_fma_f16 v45, v45, v31, -v29
	v_lshrrev_b32_e32 v29, 16, v33
	v_fmac_f16_e32 v81, v30, v88
	v_fmac_f16_e32 v84, v66, v31
	v_lshrrev_b32_e32 v30, 16, v34
	v_mul_f16_e32 v31, v67, v28
	v_mul_f16_e32 v66, v47, v28
	;; [unrolled: 1-line block ×3, first 2 shown]
	v_lshrrev_b32_e32 v85, 16, v35
	v_mul_f16_e32 v86, v49, v29
	v_lshrrev_b32_e32 v29, 16, v58
	v_fmac_f16_e32 v66, v67, v32
	v_fma_f16 v49, v49, v33, -v28
	v_mul_f16_e32 v28, v69, v30
	v_fmac_f16_e32 v86, v68, v33
	v_mul_f16_e32 v33, v51, v30
	v_mul_f16_e32 v30, v70, v85
	;; [unrolled: 1-line block ×3, first 2 shown]
	v_fma_f16 v51, v51, v34, -v28
	v_mul_f16_e32 v28, v71, v29
	v_fmac_f16_e32 v33, v69, v34
	v_fma_f16 v34, v53, v35, -v30
	v_mul_f16_e32 v53, v55, v29
	v_fmac_f16_e32 v67, v70, v35
	v_lshrrev_b32_e32 v29, 16, v36
	v_fma_f16 v35, v55, v58, -v28
	v_lshrrev_b32_e32 v28, 16, v37
	v_fma_f16 v47, v47, v32, -v31
	v_fmac_f16_e32 v53, v71, v58
	v_lshrrev_b32_e32 v30, 16, v38
	v_mul_f16_e32 v31, v72, v29
	v_mul_f16_e32 v29, v61, v29
	;; [unrolled: 1-line block ×4, first 2 shown]
	v_lshrrev_b32_e32 v58, 16, v39
	v_fma_f16 v28, v61, v36, -v31
	v_fmac_f16_e32 v29, v72, v36
	v_fma_f16 v36, v56, v37, -v32
	v_fmac_f16_e32 v55, v73, v37
	v_mul_f16_e32 v31, v74, v30
	v_mul_f16_e32 v30, v44, v30
	;; [unrolled: 1-line block ×4, first 2 shown]
	v_lshrrev_b32_e32 v56, 16, v40
	v_fma_f16 v44, v44, v38, -v31
	v_fmac_f16_e32 v30, v74, v38
	v_fma_f16 v38, v46, v39, -v32
	v_fmac_f16_e32 v37, v75, v39
	v_mul_f16_e32 v32, v76, v56
	v_lshrrev_b32_e32 v39, 16, v41
	v_lshrrev_b32_e32 v46, 16, v42
	;; [unrolled: 1-line block ×3, first 2 shown]
	v_mul_f16_e32 v31, v48, v56
	v_fma_f16 v48, v48, v40, -v32
	v_mul_f16_e32 v56, v77, v39
	v_mul_f16_e32 v39, v50, v39
	;; [unrolled: 1-line block ×4, first 2 shown]
	v_fmac_f16_e32 v31, v76, v40
	v_fma_f16 v40, v50, v41, -v56
	v_fmac_f16_e32 v39, v77, v41
	v_fma_f16 v41, v52, v42, -v61
	v_lshrrev_b32_e32 v46, 16, v59
	v_fmac_f16_e32 v32, v78, v42
	v_add_f16_e32 v42, v45, v49
	v_mul_f16_e32 v50, v79, v58
	v_mul_f16_e32 v52, v54, v58
	v_add_f16_e32 v58, v60, v62
	v_mul_f16_e32 v56, v82, v46
	v_fma_f16 v42, -0.5, v42, v60
	v_sub_f16_e32 v61, v83, v67
	v_fma_f16 v50, v54, v43, -v50
	v_add_f16_e32 v54, v58, v45
	v_sub_f16_e32 v68, v62, v45
	v_sub_f16_e32 v69, v34, v49
	v_add_f16_e32 v70, v62, v34
	v_fmac_f16_e32 v52, v79, v43
	v_fma_f16 v43, v64, v59, -v56
	v_fmamk_f16 v56, v61, 0x3b9c, v42
	v_sub_f16_e32 v58, v84, v86
	v_mul_f16_e32 v46, v64, v46
	v_add_f16_e32 v54, v54, v49
	v_add_f16_e32 v64, v68, v69
	v_fmac_f16_e32 v60, -0.5, v70
	v_fmac_f16_e32 v42, 0xbb9c, v61
	v_sub_f16_e32 v68, v45, v62
	v_sub_f16_e32 v69, v49, v34
	v_add_f16_e32 v70, v65, v83
	v_add_f16_e32 v71, v84, v86
	v_fmac_f16_e32 v56, 0x38b4, v58
	v_fmac_f16_e32 v46, v82, v59
	v_add_f16_e32 v54, v54, v34
	v_fmamk_f16 v59, v58, 0xbb9c, v60
	v_fmac_f16_e32 v42, 0xb8b4, v58
	v_add_f16_e32 v68, v68, v69
	v_fmac_f16_e32 v60, 0x3b9c, v58
	v_add_f16_e32 v58, v70, v84
	v_fma_f16 v69, -0.5, v71, v65
	v_sub_f16_e32 v34, v62, v34
	v_add_f16_e32 v62, v83, v67
	v_fmac_f16_e32 v56, 0x34f2, v64
	v_fmac_f16_e32 v59, 0x38b4, v61
	;; [unrolled: 1-line block ×4, first 2 shown]
	v_add_f16_e32 v58, v58, v86
	v_fmamk_f16 v61, v34, 0xbb9c, v69
	v_sub_f16_e32 v45, v45, v49
	v_sub_f16_e32 v49, v83, v84
	;; [unrolled: 1-line block ×3, first 2 shown]
	v_fmac_f16_e32 v65, -0.5, v62
	v_fmac_f16_e32 v69, 0x3b9c, v34
	v_fmac_f16_e32 v59, 0x34f2, v68
	;; [unrolled: 1-line block ×3, first 2 shown]
	v_add_f16_e32 v58, v58, v67
	v_fmac_f16_e32 v61, 0xb8b4, v45
	v_add_f16_e32 v49, v49, v64
	v_fmamk_f16 v62, v45, 0x3b9c, v65
	v_sub_f16_e32 v64, v84, v83
	v_sub_f16_e32 v67, v86, v67
	v_add_f16_e32 v68, v63, v57
	v_fmac_f16_e32 v69, 0x38b4, v45
	v_fmac_f16_e32 v65, 0xbb9c, v45
	;; [unrolled: 1-line block ×4, first 2 shown]
	v_add_f16_e32 v64, v64, v67
	v_add_f16_e32 v45, v68, v47
	;; [unrolled: 1-line block ×3, first 2 shown]
	v_fmac_f16_e32 v69, 0x34f2, v49
	v_fmac_f16_e32 v65, 0x38b4, v34
	v_add_f16_e32 v49, v57, v35
	v_fmac_f16_e32 v62, 0x34f2, v64
	v_add_f16_e32 v34, v45, v51
	v_fma_f16 v45, -0.5, v67, v63
	v_sub_f16_e32 v67, v81, v53
	v_fmac_f16_e32 v65, 0x34f2, v64
	v_sub_f16_e32 v64, v66, v33
	v_fmac_f16_e32 v63, -0.5, v49
	v_sub_f16_e32 v68, v57, v47
	v_fmamk_f16 v49, v67, 0x3b9c, v45
	v_fmac_f16_e32 v45, 0xbb9c, v67
	v_sub_f16_e32 v70, v35, v51
	v_fmamk_f16 v71, v64, 0xbb9c, v63
	v_fmac_f16_e32 v63, 0x3b9c, v64
	v_sub_f16_e32 v72, v47, v57
	v_sub_f16_e32 v73, v51, v35
	v_fmac_f16_e32 v49, 0x38b4, v64
	v_fmac_f16_e32 v45, 0xb8b4, v64
	;; [unrolled: 1-line block ×3, first 2 shown]
	v_add_f16_e32 v64, v66, v33
	v_fmac_f16_e32 v63, 0xb8b4, v67
	v_add_f16_e32 v67, v81, v53
	v_add_f16_e32 v34, v34, v35
	v_add_f16_e32 v68, v68, v70
	v_add_f16_e32 v70, v72, v73
	v_fma_f16 v64, -0.5, v64, v80
	v_sub_f16_e32 v35, v57, v35
	v_add_f16_e32 v57, v80, v81
	v_sub_f16_e32 v47, v47, v51
	v_fmac_f16_e32 v80, -0.5, v67
	v_fmac_f16_e32 v49, 0x34f2, v68
	v_fmac_f16_e32 v45, 0x34f2, v68
	v_fmac_f16_e32 v71, 0x34f2, v70
	v_fmac_f16_e32 v63, 0x34f2, v70
	v_sub_f16_e32 v67, v81, v66
	v_sub_f16_e32 v68, v53, v33
	v_fmamk_f16 v70, v47, 0x3b9c, v80
	v_sub_f16_e32 v72, v66, v81
	v_sub_f16_e32 v73, v33, v53
	v_fmamk_f16 v51, v35, 0xbb9c, v64
	v_add_f16_e32 v67, v67, v68
	v_fmac_f16_e32 v80, 0xbb9c, v47
	v_fmac_f16_e32 v70, 0xb8b4, v35
	v_add_f16_e32 v68, v72, v73
	v_fmac_f16_e32 v51, 0xb8b4, v47
	v_add_f16_e32 v57, v57, v66
	v_fmac_f16_e32 v64, 0x3b9c, v35
	v_fmac_f16_e32 v80, 0x38b4, v35
	;; [unrolled: 1-line block ×4, first 2 shown]
	v_add_f16_e32 v33, v57, v33
	v_fmac_f16_e32 v64, 0x38b4, v47
	v_fmac_f16_e32 v80, 0x34f2, v68
	v_mul_f16_e32 v47, 0x3b9c, v70
	v_mul_f16_e32 v57, 0x34f2, v63
	;; [unrolled: 1-line block ×3, first 2 shown]
	v_add_f16_e32 v33, v33, v53
	v_fmac_f16_e32 v64, 0x34f2, v67
	v_fmac_f16_e32 v47, 0x34f2, v71
	v_fma_f16 v53, v80, 0x3b9c, -v57
	v_mul_f16_e32 v57, 0x3a79, v45
	v_mul_f16_e32 v71, 0xbb9c, v71
	v_fmac_f16_e32 v35, 0x3a79, v49
	v_add_f16_e32 v66, v54, v34
	v_mul_f16_e32 v49, 0xb8b4, v49
	v_fma_f16 v57, v64, 0x38b4, -v57
	v_mul_f16_e32 v73, 0x34f2, v80
	v_fmac_f16_e32 v71, 0x34f2, v70
	v_sub_f16_e32 v34, v54, v34
	v_add_f16_e32 v54, v38, v40
	v_add_f16_e32 v67, v56, v35
	v_mul_f16_e32 v64, 0x3a79, v64
	v_add_f16_e32 v74, v42, v57
	v_fmac_f16_e32 v49, 0x3a79, v51
	v_fma_f16 v51, v63, 0xbb9c, -v73
	v_add_f16_e32 v63, v58, v33
	v_add_f16_e32 v70, v62, v71
	v_sub_f16_e32 v35, v56, v35
	v_sub_f16_e32 v42, v42, v57
	v_add_f16_e32 v56, v26, v36
	v_fma_f16 v54, -0.5, v54, v26
	v_sub_f16_e32 v57, v55, v52
	v_sub_f16_e32 v33, v58, v33
	;; [unrolled: 1-line block ×3, first 2 shown]
	v_add_f16_e32 v71, v36, v50
	v_add_f16_e32 v68, v59, v47
	;; [unrolled: 1-line block ×3, first 2 shown]
	v_fma_f16 v45, v45, 0xb8b4, -v64
	v_add_f16_e32 v64, v61, v49
	v_sub_f16_e32 v47, v59, v47
	v_sub_f16_e32 v53, v60, v53
	;; [unrolled: 1-line block ×3, first 2 shown]
	v_add_f16_e32 v56, v56, v38
	v_fmamk_f16 v59, v57, 0x3b9c, v54
	v_sub_f16_e32 v60, v37, v39
	v_sub_f16_e32 v61, v36, v38
	;; [unrolled: 1-line block ×3, first 2 shown]
	v_fmac_f16_e32 v26, -0.5, v71
	v_fmac_f16_e32 v54, 0xbb9c, v57
	v_add_f16_e32 v71, v27, v55
	v_add_f16_e32 v73, v65, v51
	;; [unrolled: 1-line block ×3, first 2 shown]
	v_sub_f16_e32 v51, v65, v51
	v_add_f16_e32 v56, v56, v40
	v_fmac_f16_e32 v59, 0x38b4, v60
	v_add_f16_e32 v61, v61, v62
	v_sub_f16_e32 v45, v69, v45
	v_fmamk_f16 v62, v60, 0xbb9c, v26
	v_sub_f16_e32 v65, v38, v36
	v_sub_f16_e32 v69, v40, v50
	v_fmac_f16_e32 v54, 0xb8b4, v60
	v_add_f16_e32 v76, v37, v39
	v_fmac_f16_e32 v26, 0x3b9c, v60
	v_add_f16_e32 v60, v71, v37
	v_add_f16_e32 v56, v56, v50
	;; [unrolled: 1-line block ×3, first 2 shown]
	v_fma_f16 v69, -0.5, v76, v27
	v_sub_f16_e32 v36, v36, v50
	v_add_f16_e32 v50, v60, v39
	v_add_f16_e32 v60, v55, v52
	v_fmac_f16_e32 v59, 0x34f2, v61
	v_fmac_f16_e32 v62, 0x38b4, v57
	;; [unrolled: 1-line block ×4, first 2 shown]
	v_fmamk_f16 v57, v36, 0xbb9c, v69
	v_sub_f16_e32 v38, v38, v40
	v_sub_f16_e32 v40, v55, v37
	;; [unrolled: 1-line block ×3, first 2 shown]
	v_fmac_f16_e32 v27, -0.5, v60
	v_add_f16_e32 v50, v50, v52
	v_fmac_f16_e32 v69, 0x3b9c, v36
	v_sub_f16_e32 v37, v37, v55
	v_sub_f16_e32 v39, v39, v52
	v_add_f16_e32 v52, v28, v44
	v_fmac_f16_e32 v57, 0xb8b4, v38
	v_fmamk_f16 v60, v38, 0x3b9c, v27
	v_fmac_f16_e32 v69, 0x38b4, v38
	v_add_f16_e32 v37, v37, v39
	v_fmac_f16_e32 v27, 0xbb9c, v38
	v_add_f16_e32 v38, v52, v48
	v_add_f16_e32 v39, v48, v41
	;; [unrolled: 1-line block ×3, first 2 shown]
	v_fmac_f16_e32 v60, 0xb8b4, v36
	v_fmac_f16_e32 v27, 0x38b4, v36
	v_add_f16_e32 v36, v38, v41
	v_fma_f16 v38, -0.5, v39, v28
	v_add_f16_e32 v39, v44, v43
	v_fmac_f16_e32 v57, 0x34f2, v40
	v_fmac_f16_e32 v69, 0x34f2, v40
	;; [unrolled: 1-line block ×3, first 2 shown]
	v_sub_f16_e32 v40, v30, v46
	v_fmac_f16_e32 v27, 0x34f2, v37
	v_sub_f16_e32 v37, v31, v32
	v_fmac_f16_e32 v28, -0.5, v39
	v_fmac_f16_e32 v62, 0x34f2, v65
	v_fmamk_f16 v39, v40, 0x3b9c, v38
	v_fmac_f16_e32 v38, 0xbb9c, v40
	v_fmac_f16_e32 v26, 0x34f2, v65
	v_fmamk_f16 v61, v37, 0xbb9c, v28
	v_fmac_f16_e32 v28, 0x3b9c, v37
	v_sub_f16_e32 v52, v44, v48
	v_sub_f16_e32 v55, v43, v41
	;; [unrolled: 1-line block ×4, first 2 shown]
	v_fmac_f16_e32 v39, 0x38b4, v37
	v_fmac_f16_e32 v38, 0xb8b4, v37
	;; [unrolled: 1-line block ×3, first 2 shown]
	v_add_f16_e32 v37, v31, v32
	v_fmac_f16_e32 v28, 0xb8b4, v40
	v_add_f16_e32 v40, v30, v46
	v_add_f16_e32 v36, v36, v43
	;; [unrolled: 1-line block ×4, first 2 shown]
	v_fma_f16 v37, -0.5, v37, v29
	v_sub_f16_e32 v43, v44, v43
	v_add_f16_e32 v44, v29, v30
	v_sub_f16_e32 v41, v48, v41
	v_fmac_f16_e32 v29, -0.5, v40
	v_fmac_f16_e32 v39, 0x34f2, v52
	v_fmac_f16_e32 v38, 0x34f2, v52
	;; [unrolled: 1-line block ×4, first 2 shown]
	v_fmamk_f16 v40, v43, 0xbb9c, v37
	v_sub_f16_e32 v48, v30, v31
	v_sub_f16_e32 v52, v46, v32
	v_fmamk_f16 v55, v41, 0x3b9c, v29
	v_sub_f16_e32 v30, v31, v30
	v_sub_f16_e32 v65, v32, v46
	v_fmac_f16_e32 v29, 0xbb9c, v41
	v_fmac_f16_e32 v37, 0x3b9c, v43
	v_add_f16_e32 v48, v48, v52
	v_fmac_f16_e32 v55, 0xb8b4, v43
	v_add_f16_e32 v30, v30, v65
	v_fmac_f16_e32 v29, 0x38b4, v43
	v_fmac_f16_e32 v37, 0x38b4, v41
	;; [unrolled: 1-line block ×3, first 2 shown]
	v_add_f16_e32 v31, v44, v31
	v_fmac_f16_e32 v55, 0x34f2, v30
	v_fmac_f16_e32 v29, 0x34f2, v30
	v_mul_f16_e32 v41, 0x34f2, v28
	v_fmac_f16_e32 v37, 0x34f2, v48
	v_mul_f16_e32 v43, 0x3a79, v38
	v_add_f16_e32 v31, v31, v32
	v_mul_f16_e32 v32, 0x3b9c, v55
	v_fma_f16 v41, v29, 0x3b9c, -v41
	v_mul_f16_e32 v29, 0x34f2, v29
	v_fma_f16 v43, v37, 0x38b4, -v43
	v_mul_f16_e32 v37, 0x3a79, v37
	v_fmac_f16_e32 v40, 0x34f2, v48
	v_fmac_f16_e32 v32, 0x34f2, v61
	v_mul_f16_e32 v61, 0xbb9c, v61
	v_fma_f16 v28, v28, 0xbb9c, -v29
	v_fma_f16 v29, v38, 0xb8b4, -v37
	v_add_f16_e32 v31, v31, v46
	v_mul_f16_e32 v30, 0x38b4, v40
	v_fmac_f16_e32 v61, 0x34f2, v55
	v_add_f16_e32 v55, v27, v28
	v_add_f16_e32 v71, v69, v29
	v_sub_f16_e32 v27, v27, v28
	v_sub_f16_e32 v28, v69, v29
	v_pack_b32_f16 v13, v66, v63
	v_pack_b32_f16 v29, v67, v64
	v_add_f16_e32 v52, v26, v41
	v_add_f16_e32 v65, v54, v43
	v_add_f16_e32 v37, v50, v31
	v_sub_f16_e32 v41, v26, v41
	v_sub_f16_e32 v43, v54, v43
	;; [unrolled: 1-line block ×3, first 2 shown]
	v_pack_b32_f16 v50, v68, v70
	v_pack_b32_f16 v54, v72, v73
	v_fmac_f16_e32 v30, 0x3a79, v39
	v_mul_f16_e32 v39, 0xb8b4, v39
	ds_store_2addr_b32 v12, v13, v29 offset1:10
	ds_store_2addr_b32 v12, v50, v54 offset0:20 offset1:30
	v_pack_b32_f16 v13, v74, v75
	v_pack_b32_f16 v29, v34, v33
	;; [unrolled: 1-line block ×6, first 2 shown]
	v_fmac_f16_e32 v39, 0x3a79, v40
	ds_store_2addr_b32 v12, v13, v29 offset0:40 offset1:50
	ds_store_2addr_b32 v12, v33, v34 offset0:60 offset1:70
	;; [unrolled: 1-line block ×3, first 2 shown]
	v_add_nc_u32_e32 v12, 0xffffff9c, v3
	v_add_f16_e32 v44, v56, v36
	v_add_f16_e32 v46, v59, v30
	;; [unrolled: 1-line block ×3, first 2 shown]
	v_add3_u32 v29, 0, v24, v25
	v_cndmask_b32_e64 v24, v12, v3, s0
	v_add_f16_e32 v48, v62, v32
	v_add_f16_e32 v40, v60, v61
	v_sub_f16_e32 v36, v56, v36
	v_pack_b32_f16 v25, v44, v37
	v_pack_b32_f16 v33, v46, v38
	v_mul_i32_i24_e32 v12, 9, v24
	v_mov_b32_e32 v13, 0
	v_sub_f16_e32 v30, v59, v30
	v_sub_f16_e32 v32, v62, v32
	;; [unrolled: 1-line block ×4, first 2 shown]
	v_pack_b32_f16 v34, v48, v40
	v_pack_b32_f16 v35, v52, v55
	;; [unrolled: 1-line block ×4, first 2 shown]
	ds_store_2addr_b32 v29, v25, v33 offset1:10
	ds_store_2addr_b32 v29, v34, v35 offset0:20 offset1:30
	v_lshlrev_b64 v[25:26], 2, v[12:13]
	v_pack_b32_f16 v12, v41, v27
	v_pack_b32_f16 v27, v43, v28
	;; [unrolled: 1-line block ×4, first 2 shown]
	ds_store_2addr_b32 v29, v37, v36 offset0:40 offset1:50
	ds_store_2addr_b32 v29, v30, v31 offset0:60 offset1:70
	;; [unrolled: 1-line block ×3, first 2 shown]
	v_lshrrev_b16 v12, 2, v5
	v_add_co_u32 v36, s0, s8, v25
	s_delay_alu instid0(VALU_DEP_1) | instskip(NEXT) | instid1(VALU_DEP_3)
	v_add_co_ci_u32_e64 v37, s0, s9, v26, s0
	v_and_b32_e32 v12, 0xffff, v12
	s_waitcnt lgkmcnt(0)
	s_barrier
	buffer_gl0_inv
	s_clause 0x1
	global_load_b128 v[28:31], v[36:37], off offset:360
	global_load_b128 v[32:35], v[36:37], off offset:376
	v_mul_u32_u24_e32 v12, 0x147b, v12
	global_load_b32 v58, v[36:37], off offset:392
	v_cmp_lt_u32_e64 s0, 0x63, v3
	v_lshlrev_b32_e32 v24, 2, v24
	v_lshrrev_b32_e32 v12, 17, v12
	s_delay_alu instid0(VALU_DEP_1) | instskip(SKIP_1) | instid1(VALU_DEP_2)
	v_mul_lo_u16 v25, 0x64, v12
	v_mul_u32_u24_e32 v12, 0xfa0, v12
	v_sub_nc_u16 v25, v5, v25
	s_delay_alu instid0(VALU_DEP_1) | instskip(NEXT) | instid1(VALU_DEP_1)
	v_and_b32_e32 v25, 0xffff, v25
	v_mul_u32_u24_e32 v26, 9, v25
	v_lshlrev_b32_e32 v25, 2, v25
	s_delay_alu instid0(VALU_DEP_2)
	v_lshlrev_b32_e32 v26, 2, v26
	s_clause 0x2
	global_load_b128 v[36:39], v26, s[8:9] offset:360
	global_load_b128 v[40:43], v26, s[8:9] offset:376
	global_load_b32 v59, v26, s[8:9] offset:392
	ds_load_b32 v60, v0
	ds_load_2addr_b32 v[44:45], v14 offset0:8 offset1:208
	ds_load_2addr_b32 v[46:47], v21 offset0:24 offset1:224
	;; [unrolled: 1-line block ×5, first 2 shown]
	ds_load_b32 v27, v6
	ds_load_b32 v61, v0 offset:2400
	ds_load_2addr_b32 v[54:55], v15 offset0:40 offset1:240
	ds_load_2addr_b32 v[56:57], v19 offset0:24 offset1:224
	ds_load_b32 v62, v17
	ds_load_b32 v63, v16
	ds_load_b32 v64, v0 offset:15200
	s_waitcnt vmcnt(0) lgkmcnt(0)
	s_barrier
	buffer_gl0_inv
	v_add3_u32 v12, 0, v12, v25
	v_lshrrev_b32_e32 v65, 16, v60
	v_lshrrev_b32_e32 v66, 16, v45
	;; [unrolled: 1-line block ×22, first 2 shown]
	s_delay_alu instid0(VALU_DEP_4) | instskip(SKIP_2) | instid1(VALU_DEP_3)
	v_mul_f16_e32 v83, v77, v78
	v_mul_f16_e32 v77, v77, v62
	;; [unrolled: 1-line block ×3, first 2 shown]
	v_fma_f16 v62, v28, v62, -v83
	v_lshrrev_b32_e32 v83, 16, v55
	s_delay_alu instid0(VALU_DEP_4)
	v_fmac_f16_e32 v77, v28, v78
	v_mul_f16_e32 v78, v82, v63
	v_lshrrev_b32_e32 v28, 16, v57
	v_fma_f16 v63, v29, v63, -v87
	v_mul_f16_e32 v82, v84, v83
	v_mul_f16_e32 v84, v84, v55
	v_fmac_f16_e32 v78, v29, v85
	v_mul_f16_e32 v29, v86, v28
	v_lshrrev_b32_e32 v85, 16, v35
	v_fma_f16 v55, v30, v55, -v82
	v_mul_f16_e32 v82, v86, v57
	v_fmac_f16_e32 v84, v30, v83
	v_lshrrev_b32_e32 v30, 16, v32
	v_fma_f16 v57, v31, v57, -v29
	v_lshrrev_b32_e32 v29, 16, v33
	v_fmac_f16_e32 v82, v31, v28
	v_lshrrev_b32_e32 v28, 16, v34
	v_mul_f16_e32 v31, v66, v30
	v_mul_f16_e32 v83, v45, v30
	;; [unrolled: 1-line block ×5, first 2 shown]
	v_fma_f16 v45, v45, v32, -v31
	v_fmac_f16_e32 v83, v66, v32
	v_fma_f16 v47, v47, v33, -v30
	v_fmac_f16_e32 v86, v67, v33
	v_mul_f16_e32 v33, v49, v28
	v_lshrrev_b32_e32 v28, 16, v58
	v_mul_f16_e32 v30, v69, v85
	v_fma_f16 v49, v49, v34, -v29
	v_mul_f16_e32 v66, v51, v85
	v_fmac_f16_e32 v33, v68, v34
	v_mul_f16_e32 v29, v70, v28
	v_fma_f16 v34, v51, v35, -v30
	v_mul_f16_e32 v51, v53, v28
	v_lshrrev_b32_e32 v28, 16, v36
	v_lshrrev_b32_e32 v30, 16, v37
	v_fmac_f16_e32 v66, v69, v35
	v_fma_f16 v35, v53, v58, -v29
	v_fmac_f16_e32 v51, v70, v58
	v_lshrrev_b32_e32 v31, 16, v38
	v_mul_f16_e32 v32, v71, v28
	v_mul_f16_e32 v29, v61, v28
	;; [unrolled: 1-line block ×4, first 2 shown]
	v_lshrrev_b32_e32 v67, 16, v39
	v_fma_f16 v28, v61, v36, -v32
	v_fmac_f16_e32 v29, v71, v36
	v_fma_f16 v36, v54, v37, -v53
	v_fmac_f16_e32 v58, v72, v37
	v_mul_f16_e32 v32, v73, v31
	v_mul_f16_e32 v30, v56, v31
	;; [unrolled: 1-line block ×4, first 2 shown]
	v_lshrrev_b32_e32 v53, 16, v40
	v_fma_f16 v54, v56, v38, -v32
	v_fmac_f16_e32 v30, v73, v38
	v_fma_f16 v38, v44, v39, -v31
	v_fmac_f16_e32 v37, v74, v39
	v_mul_f16_e32 v32, v75, v53
	v_lshrrev_b32_e32 v39, 16, v41
	v_lshrrev_b32_e32 v44, 16, v42
	;; [unrolled: 1-line block ×3, first 2 shown]
	v_mul_f16_e32 v31, v46, v53
	v_fma_f16 v46, v46, v40, -v32
	v_mul_f16_e32 v53, v76, v39
	v_mul_f16_e32 v39, v48, v39
	v_mul_f16_e32 v61, v79, v44
	v_mul_f16_e32 v32, v50, v44
	v_fmac_f16_e32 v31, v75, v40
	v_fma_f16 v40, v48, v41, -v53
	v_fmac_f16_e32 v39, v76, v41
	v_fma_f16 v41, v50, v42, -v61
	v_lshrrev_b32_e32 v44, 16, v59
	v_fmac_f16_e32 v32, v79, v42
	v_add_f16_e32 v42, v57, v47
	v_mul_f16_e32 v48, v80, v56
	v_mul_f16_e32 v50, v52, v56
	v_add_f16_e32 v56, v60, v63
	v_mul_f16_e32 v53, v81, v44
	v_fma_f16 v42, -0.5, v42, v60
	v_sub_f16_e32 v61, v78, v66
	v_fma_f16 v48, v52, v43, -v48
	v_add_f16_e32 v52, v56, v57
	v_sub_f16_e32 v67, v63, v57
	v_sub_f16_e32 v68, v34, v47
	v_add_f16_e32 v69, v63, v34
	v_fmac_f16_e32 v50, v80, v43
	v_fma_f16 v43, v64, v59, -v53
	v_fmamk_f16 v53, v61, 0x3b9c, v42
	v_sub_f16_e32 v56, v82, v86
	v_mul_f16_e32 v44, v64, v44
	v_add_f16_e32 v52, v52, v47
	v_add_f16_e32 v64, v67, v68
	v_fmac_f16_e32 v60, -0.5, v69
	v_fmac_f16_e32 v42, 0xbb9c, v61
	v_sub_f16_e32 v67, v57, v63
	v_sub_f16_e32 v68, v47, v34
	v_add_f16_e32 v69, v65, v78
	v_add_f16_e32 v70, v82, v86
	v_fmac_f16_e32 v53, 0x38b4, v56
	v_fmac_f16_e32 v44, v81, v59
	v_add_f16_e32 v52, v52, v34
	v_fmamk_f16 v59, v56, 0xbb9c, v60
	v_fmac_f16_e32 v42, 0xb8b4, v56
	v_add_f16_e32 v67, v67, v68
	v_fmac_f16_e32 v60, 0x3b9c, v56
	v_add_f16_e32 v56, v69, v82
	v_fma_f16 v68, -0.5, v70, v65
	v_sub_f16_e32 v34, v63, v34
	v_add_f16_e32 v63, v78, v66
	v_fmac_f16_e32 v53, 0x34f2, v64
	v_fmac_f16_e32 v59, 0x38b4, v61
	;; [unrolled: 1-line block ×4, first 2 shown]
	v_add_f16_e32 v56, v56, v86
	v_fmamk_f16 v61, v34, 0xbb9c, v68
	v_sub_f16_e32 v47, v57, v47
	v_sub_f16_e32 v57, v78, v82
	;; [unrolled: 1-line block ×3, first 2 shown]
	v_fmac_f16_e32 v65, -0.5, v63
	v_fmac_f16_e32 v68, 0x3b9c, v34
	v_fmac_f16_e32 v59, 0x34f2, v67
	;; [unrolled: 1-line block ×3, first 2 shown]
	v_add_f16_e32 v56, v56, v66
	v_fmac_f16_e32 v61, 0xb8b4, v47
	v_add_f16_e32 v57, v57, v64
	v_fmamk_f16 v63, v47, 0x3b9c, v65
	v_sub_f16_e32 v64, v82, v78
	v_sub_f16_e32 v66, v86, v66
	v_add_f16_e32 v67, v62, v55
	v_fmac_f16_e32 v68, 0x38b4, v47
	v_fmac_f16_e32 v65, 0xbb9c, v47
	;; [unrolled: 1-line block ×4, first 2 shown]
	v_add_f16_e32 v64, v64, v66
	v_add_f16_e32 v47, v67, v45
	;; [unrolled: 1-line block ×3, first 2 shown]
	v_fmac_f16_e32 v68, 0x34f2, v57
	v_fmac_f16_e32 v65, 0x38b4, v34
	v_add_f16_e32 v57, v55, v35
	v_fmac_f16_e32 v63, 0x34f2, v64
	v_add_f16_e32 v34, v47, v49
	v_fma_f16 v47, -0.5, v66, v62
	v_sub_f16_e32 v66, v84, v51
	v_fmac_f16_e32 v65, 0x34f2, v64
	v_sub_f16_e32 v64, v83, v33
	v_fmac_f16_e32 v62, -0.5, v57
	v_sub_f16_e32 v67, v55, v45
	v_fmamk_f16 v57, v66, 0x3b9c, v47
	v_fmac_f16_e32 v47, 0xbb9c, v66
	v_sub_f16_e32 v69, v35, v49
	v_fmamk_f16 v70, v64, 0xbb9c, v62
	v_fmac_f16_e32 v62, 0x3b9c, v64
	v_sub_f16_e32 v71, v45, v55
	v_sub_f16_e32 v72, v49, v35
	v_fmac_f16_e32 v57, 0x38b4, v64
	v_fmac_f16_e32 v47, 0xb8b4, v64
	;; [unrolled: 1-line block ×3, first 2 shown]
	v_add_f16_e32 v64, v83, v33
	v_fmac_f16_e32 v62, 0xb8b4, v66
	v_add_f16_e32 v66, v84, v51
	v_add_f16_e32 v34, v34, v35
	;; [unrolled: 1-line block ×4, first 2 shown]
	v_fma_f16 v64, -0.5, v64, v77
	v_sub_f16_e32 v35, v55, v35
	v_add_f16_e32 v55, v77, v84
	v_sub_f16_e32 v45, v45, v49
	v_fmac_f16_e32 v77, -0.5, v66
	v_fmac_f16_e32 v57, 0x34f2, v67
	v_fmac_f16_e32 v47, 0x34f2, v67
	v_fmac_f16_e32 v70, 0x34f2, v69
	v_fmac_f16_e32 v62, 0x34f2, v69
	v_fmamk_f16 v49, v35, 0xbb9c, v64
	v_sub_f16_e32 v66, v84, v83
	v_sub_f16_e32 v67, v51, v33
	v_fmamk_f16 v69, v45, 0x3b9c, v77
	v_sub_f16_e32 v71, v83, v84
	v_sub_f16_e32 v72, v33, v51
	v_fmac_f16_e32 v49, 0xb8b4, v45
	v_add_f16_e32 v66, v66, v67
	v_fmac_f16_e32 v77, 0xbb9c, v45
	v_fmac_f16_e32 v69, 0xb8b4, v35
	v_add_f16_e32 v67, v71, v72
	v_add_f16_e32 v55, v55, v83
	v_fmac_f16_e32 v64, 0x3b9c, v35
	v_fmac_f16_e32 v77, 0x38b4, v35
	;; [unrolled: 1-line block ×4, first 2 shown]
	v_add_f16_e32 v33, v55, v33
	v_fmac_f16_e32 v64, 0x38b4, v45
	v_fmac_f16_e32 v77, 0x34f2, v67
	v_mul_f16_e32 v35, 0x38b4, v49
	v_mul_f16_e32 v45, 0x3b9c, v69
	;; [unrolled: 1-line block ×3, first 2 shown]
	v_add_f16_e32 v33, v33, v51
	v_fmac_f16_e32 v64, 0x34f2, v66
	v_fmac_f16_e32 v35, 0x3a79, v57
	;; [unrolled: 1-line block ×3, first 2 shown]
	v_fma_f16 v51, v77, 0x3b9c, -v55
	v_mul_f16_e32 v55, 0x3a79, v47
	v_mul_f16_e32 v57, 0xb8b4, v57
	;; [unrolled: 1-line block ×3, first 2 shown]
	v_add_f16_e32 v66, v52, v34
	v_mul_f16_e32 v73, 0x34f2, v77
	v_fma_f16 v55, v64, 0x38b4, -v55
	v_mul_f16_e32 v64, 0x3a79, v64
	v_fmac_f16_e32 v57, 0x3a79, v49
	v_fmac_f16_e32 v70, 0x34f2, v69
	v_sub_f16_e32 v34, v52, v34
	v_add_f16_e32 v52, v38, v40
	v_add_f16_e32 v67, v53, v35
	;; [unrolled: 1-line block ×3, first 2 shown]
	v_fma_f16 v49, v62, 0xbb9c, -v73
	v_fma_f16 v47, v47, 0xb8b4, -v64
	v_add_f16_e32 v62, v56, v33
	v_add_f16_e32 v64, v61, v57
	;; [unrolled: 1-line block ×3, first 2 shown]
	v_sub_f16_e32 v35, v53, v35
	v_sub_f16_e32 v42, v42, v55
	v_add_f16_e32 v53, v27, v36
	v_fma_f16 v52, -0.5, v52, v27
	v_sub_f16_e32 v55, v58, v50
	v_sub_f16_e32 v33, v56, v33
	;; [unrolled: 1-line block ×4, first 2 shown]
	v_add_f16_e32 v70, v36, v48
	v_add_f16_e32 v71, v59, v45
	;; [unrolled: 1-line block ×3, first 2 shown]
	v_sub_f16_e32 v45, v59, v45
	v_sub_f16_e32 v51, v60, v51
	v_add_f16_e32 v53, v53, v38
	v_fmamk_f16 v59, v55, 0x3b9c, v52
	v_sub_f16_e32 v60, v37, v39
	v_sub_f16_e32 v61, v36, v38
	v_sub_f16_e32 v63, v48, v40
	v_fmac_f16_e32 v27, -0.5, v70
	v_fmac_f16_e32 v52, 0xbb9c, v55
	v_add_f16_e32 v70, v26, v58
	v_add_f16_e32 v73, v65, v49
	;; [unrolled: 1-line block ×3, first 2 shown]
	v_sub_f16_e32 v49, v65, v49
	v_add_f16_e32 v53, v53, v40
	v_fmac_f16_e32 v59, 0x38b4, v60
	v_add_f16_e32 v61, v61, v63
	v_sub_f16_e32 v47, v68, v47
	v_fmamk_f16 v63, v60, 0xbb9c, v27
	v_sub_f16_e32 v65, v38, v36
	v_sub_f16_e32 v68, v40, v48
	v_fmac_f16_e32 v52, 0xb8b4, v60
	v_add_f16_e32 v76, v37, v39
	v_fmac_f16_e32 v27, 0x3b9c, v60
	v_add_f16_e32 v60, v70, v37
	v_add_f16_e32 v53, v53, v48
	;; [unrolled: 1-line block ×3, first 2 shown]
	v_fma_f16 v68, -0.5, v76, v26
	v_sub_f16_e32 v36, v36, v48
	v_add_f16_e32 v48, v60, v39
	v_add_f16_e32 v60, v58, v50
	v_fmac_f16_e32 v59, 0x34f2, v61
	v_fmac_f16_e32 v63, 0x38b4, v55
	;; [unrolled: 1-line block ×4, first 2 shown]
	v_fmamk_f16 v55, v36, 0xbb9c, v68
	v_sub_f16_e32 v38, v38, v40
	v_sub_f16_e32 v40, v58, v37
	;; [unrolled: 1-line block ×3, first 2 shown]
	v_fmac_f16_e32 v26, -0.5, v60
	v_add_f16_e32 v48, v48, v50
	v_fmac_f16_e32 v68, 0x3b9c, v36
	v_sub_f16_e32 v37, v37, v58
	v_sub_f16_e32 v39, v39, v50
	v_add_f16_e32 v50, v28, v54
	v_fmac_f16_e32 v55, 0xb8b4, v38
	v_fmamk_f16 v60, v38, 0x3b9c, v26
	v_fmac_f16_e32 v68, 0x38b4, v38
	v_add_f16_e32 v37, v37, v39
	v_fmac_f16_e32 v26, 0xbb9c, v38
	v_add_f16_e32 v38, v50, v46
	v_add_f16_e32 v39, v46, v41
	;; [unrolled: 1-line block ×3, first 2 shown]
	v_fmac_f16_e32 v60, 0xb8b4, v36
	v_fmac_f16_e32 v26, 0x38b4, v36
	v_add_f16_e32 v36, v38, v41
	v_fma_f16 v38, -0.5, v39, v28
	v_add_f16_e32 v39, v54, v43
	v_fmac_f16_e32 v55, 0x34f2, v40
	v_fmac_f16_e32 v68, 0x34f2, v40
	v_sub_f16_e32 v40, v30, v44
	v_fmac_f16_e32 v60, 0x34f2, v37
	v_fmac_f16_e32 v26, 0x34f2, v37
	v_sub_f16_e32 v37, v31, v32
	v_fmac_f16_e32 v28, -0.5, v39
	v_fmamk_f16 v39, v40, 0x3b9c, v38
	v_fmac_f16_e32 v38, 0xbb9c, v40
	v_sub_f16_e32 v50, v54, v46
	v_sub_f16_e32 v58, v43, v41
	v_fmamk_f16 v61, v37, 0xbb9c, v28
	v_fmac_f16_e32 v28, 0x3b9c, v37
	v_fmac_f16_e32 v39, 0x38b4, v37
	;; [unrolled: 1-line block ×3, first 2 shown]
	v_add_f16_e32 v37, v31, v32
	v_fmac_f16_e32 v63, 0x34f2, v65
	v_fmac_f16_e32 v27, 0x34f2, v65
	v_sub_f16_e32 v65, v46, v54
	v_sub_f16_e32 v70, v41, v43
	v_add_f16_e32 v50, v50, v58
	v_fmac_f16_e32 v61, 0x38b4, v40
	v_fmac_f16_e32 v28, 0xb8b4, v40
	v_add_f16_e32 v40, v30, v44
	v_add_f16_e32 v36, v36, v43
	v_fma_f16 v37, -0.5, v37, v29
	v_sub_f16_e32 v43, v54, v43
	v_add_f16_e32 v58, v65, v70
	v_fmac_f16_e32 v39, 0x34f2, v50
	v_fmac_f16_e32 v38, 0x34f2, v50
	v_add_f16_e32 v50, v29, v30
	v_sub_f16_e32 v41, v46, v41
	v_fmac_f16_e32 v29, -0.5, v40
	v_fmamk_f16 v40, v43, 0xbb9c, v37
	v_sub_f16_e32 v46, v30, v31
	v_sub_f16_e32 v54, v44, v32
	v_fmac_f16_e32 v61, 0x34f2, v58
	v_fmac_f16_e32 v28, 0x34f2, v58
	v_fmamk_f16 v58, v41, 0x3b9c, v29
	v_sub_f16_e32 v30, v31, v30
	v_sub_f16_e32 v65, v32, v44
	v_fmac_f16_e32 v29, 0xbb9c, v41
	v_fmac_f16_e32 v37, 0x3b9c, v43
	;; [unrolled: 1-line block ×3, first 2 shown]
	v_add_f16_e32 v46, v46, v54
	v_fmac_f16_e32 v58, 0xb8b4, v43
	v_add_f16_e32 v30, v30, v65
	v_fmac_f16_e32 v29, 0x38b4, v43
	v_fmac_f16_e32 v37, 0x38b4, v41
	;; [unrolled: 1-line block ×3, first 2 shown]
	v_add_f16_e32 v31, v50, v31
	v_fmac_f16_e32 v58, 0x34f2, v30
	v_fmac_f16_e32 v29, 0x34f2, v30
	v_mul_f16_e32 v41, 0x34f2, v28
	v_fmac_f16_e32 v37, 0x34f2, v46
	v_mul_f16_e32 v43, 0x3a79, v38
	v_mul_f16_e32 v30, 0x38b4, v40
	v_add_f16_e32 v31, v31, v32
	v_mul_f16_e32 v32, 0x3b9c, v58
	v_fma_f16 v41, v29, 0x3b9c, -v41
	v_fma_f16 v43, v37, 0x38b4, -v43
	v_mul_f16_e32 v29, 0x34f2, v29
	v_fmac_f16_e32 v30, 0x3a79, v39
	v_mul_f16_e32 v39, 0xb8b4, v39
	v_fmac_f16_e32 v32, 0x34f2, v61
	v_add_f16_e32 v54, v27, v41
	v_mul_f16_e32 v61, 0xbb9c, v61
	v_mul_f16_e32 v37, 0x3a79, v37
	v_add_f16_e32 v65, v52, v43
	v_fma_f16 v28, v28, 0xbb9c, -v29
	v_sub_f16_e32 v27, v27, v41
	v_sub_f16_e32 v41, v52, v43
	v_cndmask_b32_e64 v43, 0, 0xfa0, s0
	v_add_f16_e32 v31, v31, v44
	v_fmac_f16_e32 v39, 0x3a79, v40
	v_fmac_f16_e32 v61, 0x34f2, v58
	v_fma_f16 v29, v38, 0xb8b4, -v37
	v_add_f16_e32 v58, v26, v28
	v_sub_f16_e32 v26, v26, v28
	v_add3_u32 v24, 0, v43, v24
	v_pack_b32_f16 v28, v66, v62
	v_pack_b32_f16 v43, v67, v64
	v_add_f16_e32 v44, v53, v36
	v_add_f16_e32 v46, v59, v30
	v_add_f16_e32 v37, v48, v31
	v_add_f16_e32 v38, v55, v39
	v_add_f16_e32 v50, v63, v32
	v_add_f16_e32 v40, v60, v61
	v_add_f16_e32 v70, v68, v29
	v_sub_f16_e32 v29, v68, v29
	ds_store_2addr_b32 v24, v28, v43 offset1:100
	v_pack_b32_f16 v28, v71, v69
	v_pack_b32_f16 v43, v72, v73
	v_add_nc_u32_e32 v52, 0x200, v24
	v_sub_f16_e32 v36, v53, v36
	v_sub_f16_e32 v31, v48, v31
	v_pack_b32_f16 v53, v74, v75
	v_pack_b32_f16 v33, v34, v33
	v_add_nc_u32_e32 v34, 0x400, v24
	v_sub_f16_e32 v30, v59, v30
	v_sub_f16_e32 v32, v63, v32
	v_sub_f16_e32 v39, v55, v39
	v_sub_f16_e32 v48, v60, v61
	v_pack_b32_f16 v35, v35, v56
	v_pack_b32_f16 v45, v45, v57
	v_add_nc_u32_e32 v55, 0x800, v24
	v_pack_b32_f16 v49, v51, v49
	v_pack_b32_f16 v42, v42, v47
	v_add_nc_u32_e32 v24, 0xc00, v24
	v_pack_b32_f16 v25, v44, v37
	v_pack_b32_f16 v37, v46, v38
	ds_store_2addr_b32 v52, v28, v43 offset0:72 offset1:172
	ds_store_2addr_b32 v34, v53, v33 offset0:144 offset1:244
	ds_store_2addr_b32 v55, v35, v45 offset0:88 offset1:188
	ds_store_2addr_b32 v24, v49, v42 offset0:32 offset1:132
	ds_store_2addr_b32 v12, v25, v37 offset1:100
	v_pack_b32_f16 v24, v50, v40
	v_pack_b32_f16 v25, v54, v58
	v_add_nc_u32_e32 v28, 0x200, v12
	v_pack_b32_f16 v26, v27, v26
	v_pack_b32_f16 v27, v41, v29
	v_mul_u32_u24_e32 v29, 3, v3
	v_pack_b32_f16 v33, v65, v70
	v_pack_b32_f16 v31, v36, v31
	v_add_nc_u32_e32 v34, 0x400, v12
	v_pack_b32_f16 v30, v30, v39
	v_pack_b32_f16 v32, v32, v48
	v_add_nc_u32_e32 v35, 0x800, v12
	v_add_nc_u32_e32 v12, 0xc00, v12
	ds_store_2addr_b32 v28, v24, v25 offset0:72 offset1:172
	ds_store_2addr_b32 v34, v33, v31 offset0:144 offset1:244
	;; [unrolled: 1-line block ×4, first 2 shown]
	v_lshlrev_b32_e32 v24, 2, v29
	v_mul_i32_i24_e32 v12, 3, v5
	s_waitcnt lgkmcnt(0)
	s_barrier
	buffer_gl0_inv
	global_load_b96 v[24:26], v24, s[8:9] offset:3960
	v_lshlrev_b64 v[27:28], 2, v[12:13]
	v_mul_i32_i24_e32 v12, 3, v11
	s_delay_alu instid0(VALU_DEP_2) | instskip(NEXT) | instid1(VALU_DEP_1)
	v_add_co_u32 v27, s0, s8, v27
	v_add_co_ci_u32_e64 v28, s0, s9, v28, s0
	s_delay_alu instid0(VALU_DEP_3) | instskip(SKIP_3) | instid1(VALU_DEP_1)
	v_lshlrev_b64 v[30:31], 2, v[12:13]
	v_mul_i32_i24_e32 v12, 3, v10
	global_load_b96 v[27:29], v[27:28], off offset:3960
	v_add_co_u32 v30, s0, s8, v30
	v_add_co_ci_u32_e64 v31, s0, s9, v31, s0
	v_lshlrev_b64 v[33:34], 2, v[12:13]
	v_mul_i32_i24_e32 v12, 3, v9
	global_load_b96 v[30:32], v[30:31], off offset:3960
	v_add_co_u32 v33, s0, s8, v33
	s_delay_alu instid0(VALU_DEP_1) | instskip(SKIP_3) | instid1(VALU_DEP_1)
	v_add_co_ci_u32_e64 v34, s0, s9, v34, s0
	v_lshlrev_b64 v[36:37], 2, v[12:13]
	global_load_b96 v[33:35], v[33:34], off offset:3960
	v_add_co_u32 v36, s0, s8, v36
	v_add_co_ci_u32_e64 v37, s0, s9, v37, s0
	global_load_b96 v[36:38], v[36:37], off offset:3960
	ds_load_2addr_b32 v[39:40], v21 offset0:24 offset1:224
	ds_load_2addr_b32 v[41:42], v23 offset0:24 offset1:224
	;; [unrolled: 1-line block ×7, first 2 shown]
	v_lshl_add_u32 v19, v10, 2, 0
	ds_load_b32 v12, v16
	ds_load_b32 v20, v0 offset:15200
	ds_load_b32 v23, v17
	ds_load_b32 v49, v0
	;; [unrolled: 1-line block ×4, first 2 shown]
	s_waitcnt vmcnt(0) lgkmcnt(0)
	s_barrier
	buffer_gl0_inv
	v_lshrrev_b32_e32 v52, 16, v39
	v_lshrrev_b32_e32 v70, 16, v41
	;; [unrolled: 1-line block ×17, first 2 shown]
	s_delay_alu instid0(VALU_DEP_3) | instskip(SKIP_1) | instid1(VALU_DEP_4)
	v_mul_f16_e32 v67, v61, v62
	v_mul_f16_e32 v61, v61, v14
	;; [unrolled: 1-line block ×3, first 2 shown]
	s_delay_alu instid0(VALU_DEP_3) | instskip(NEXT) | instid1(VALU_DEP_3)
	v_fma_f16 v14, v24, v14, -v67
	v_fmac_f16_e32 v61, v24, v62
	s_delay_alu instid0(VALU_DEP_3)
	v_fma_f16 v24, v25, v48, -v68
	v_mul_f16_e32 v48, v63, v48
	v_mul_f16_e32 v62, v69, v70
	v_lshrrev_b32_e32 v63, 16, v27
	v_lshrrev_b32_e32 v67, 16, v15
	v_mul_f16_e32 v68, v69, v41
	v_fmac_f16_e32 v48, v25, v64
	v_lshrrev_b32_e32 v25, 16, v28
	v_fma_f16 v41, v26, v41, -v62
	v_mul_f16_e32 v62, v63, v67
	v_fmac_f16_e32 v68, v26, v70
	v_mul_f16_e32 v26, v63, v15
	v_mul_f16_e32 v63, v52, v25
	v_lshrrev_b32_e32 v64, 16, v29
	v_fma_f16 v15, v27, v15, -v62
	v_mul_f16_e32 v25, v39, v25
	v_fmac_f16_e32 v26, v27, v67
	v_fma_f16 v27, v39, v28, -v63
	v_mul_f16_e32 v39, v53, v64
	v_lshrrev_b32_e32 v62, 16, v30
	v_fmac_f16_e32 v25, v52, v28
	v_mul_f16_e32 v28, v42, v64
	v_lshrrev_b32_e32 v52, 16, v31
	v_fma_f16 v39, v42, v29, -v39
	v_mul_f16_e32 v42, v54, v62
	v_mul_f16_e32 v62, v43, v62
	v_fmac_f16_e32 v28, v53, v29
	v_mul_f16_e32 v29, v55, v52
	v_lshrrev_b32_e32 v53, 16, v32
	v_fma_f16 v42, v43, v30, -v42
	v_fmac_f16_e32 v62, v54, v30
	v_mul_f16_e32 v30, v40, v52
	v_fma_f16 v29, v40, v31, -v29
	v_mul_f16_e32 v40, v56, v53
	v_lshrrev_b32_e32 v43, 16, v33
	v_mul_f16_e32 v52, v21, v53
	v_fmac_f16_e32 v30, v55, v31
	v_lshrrev_b32_e32 v31, 16, v34
	v_fma_f16 v21, v21, v32, -v40
	v_mul_f16_e32 v40, v57, v43
	v_fmac_f16_e32 v52, v56, v32
	v_mul_f16_e32 v32, v44, v43
	v_mul_f16_e32 v43, v58, v31
	v_lshrrev_b32_e32 v53, 16, v35
	v_mul_f16_e32 v31, v45, v31
	v_fma_f16 v40, v44, v33, -v40
	v_fmac_f16_e32 v32, v57, v33
	v_fma_f16 v33, v45, v34, -v43
	v_mul_f16_e32 v43, v59, v53
	v_lshrrev_b32_e32 v44, 16, v36
	v_fmac_f16_e32 v31, v58, v34
	v_lshrrev_b32_e32 v34, 16, v37
	v_mul_f16_e32 v45, v22, v53
	v_fma_f16 v22, v22, v35, -v43
	v_mul_f16_e32 v43, v60, v44
	v_sub_f16_e32 v24, v49, v24
	v_sub_f16_e32 v41, v14, v41
	v_mul_f16_e32 v44, v47, v44
	v_mul_f16_e32 v53, v65, v34
	v_fmac_f16_e32 v45, v59, v35
	v_lshrrev_b32_e32 v35, 16, v38
	v_fma_f16 v43, v47, v36, -v43
	v_lshrrev_b32_e32 v47, 16, v49
	v_fma_f16 v49, v49, 2.0, -v24
	v_fma_f16 v14, v14, 2.0, -v41
	v_fmac_f16_e32 v44, v60, v36
	v_fma_f16 v36, v46, v37, -v53
	v_mul_f16_e32 v34, v46, v34
	v_mul_f16_e32 v46, v66, v35
	v_mul_f16_e32 v35, v20, v35
	v_sub_f16_e32 v53, v61, v68
	v_sub_f16_e32 v14, v49, v14
	;; [unrolled: 1-line block ×3, first 2 shown]
	v_fma_f16 v20, v20, v38, -v46
	v_fmac_f16_e32 v35, v66, v38
	v_lshrrev_b32_e32 v38, 16, v50
	v_fma_f16 v54, v61, 2.0, -v53
	v_fma_f16 v46, v49, 2.0, -v14
	v_sub_f16_e32 v49, v24, v53
	v_lshrrev_b32_e32 v53, 16, v23
	v_fma_f16 v47, v47, 2.0, -v48
	v_sub_f16_e32 v27, v50, v27
	v_sub_f16_e32 v39, v15, v39
	;; [unrolled: 1-line block ×4, first 2 shown]
	v_lshrrev_b32_e32 v55, 16, v51
	v_fmac_f16_e32 v34, v65, v37
	v_sub_f16_e32 v29, v23, v29
	v_sub_f16_e32 v21, v42, v21
	;; [unrolled: 1-line block ×4, first 2 shown]
	v_lshrrev_b32_e32 v56, 16, v12
	v_sub_f16_e32 v37, v47, v54
	v_fma_f16 v50, v50, 2.0, -v27
	v_fma_f16 v15, v15, 2.0, -v39
	;; [unrolled: 1-line block ×4, first 2 shown]
	v_sub_f16_e32 v33, v51, v33
	v_sub_f16_e32 v22, v40, v22
	;; [unrolled: 1-line block ×4, first 2 shown]
	v_add_f16_e32 v41, v48, v41
	v_fma_f16 v23, v23, 2.0, -v29
	v_fma_f16 v42, v42, 2.0, -v21
	;; [unrolled: 1-line block ×4, first 2 shown]
	v_sub_f16_e32 v36, v12, v36
	v_sub_f16_e32 v34, v56, v34
	;; [unrolled: 1-line block ×4, first 2 shown]
	v_fma_f16 v47, v47, 2.0, -v37
	v_sub_f16_e32 v15, v50, v15
	v_sub_f16_e32 v26, v38, v26
	v_fma_f16 v51, v51, 2.0, -v33
	v_fma_f16 v40, v40, 2.0, -v22
	;; [unrolled: 1-line block ×6, first 2 shown]
	v_sub_f16_e32 v28, v27, v28
	v_add_f16_e32 v39, v25, v39
	v_sub_f16_e32 v42, v23, v42
	v_sub_f16_e32 v54, v53, v54
	v_fma_f16 v12, v12, 2.0, -v36
	v_fma_f16 v56, v56, 2.0, -v34
	;; [unrolled: 1-line block ×6, first 2 shown]
	v_sub_f16_e32 v52, v29, v52
	v_add_f16_e32 v21, v30, v21
	v_sub_f16_e32 v40, v51, v40
	v_sub_f16_e32 v32, v55, v32
	v_pack_b32_f16 v46, v46, v47
	v_fma_f16 v27, v27, 2.0, -v28
	v_fma_f16 v25, v25, 2.0, -v39
	v_sub_f16_e32 v45, v33, v45
	v_add_f16_e32 v22, v31, v22
	v_pack_b32_f16 v24, v24, v48
	v_pack_b32_f16 v14, v14, v37
	;; [unrolled: 1-line block ×3, first 2 shown]
	v_fma_f16 v23, v23, 2.0, -v42
	v_fma_f16 v53, v53, 2.0, -v54
	v_sub_f16_e32 v43, v12, v43
	v_sub_f16_e32 v44, v56, v44
	v_fma_f16 v29, v29, 2.0, -v52
	v_fma_f16 v30, v30, 2.0, -v21
	;; [unrolled: 1-line block ×4, first 2 shown]
	v_sub_f16_e32 v35, v36, v35
	v_add_f16_e32 v20, v34, v20
	ds_store_b32 v0, v46
	ds_store_b32 v0, v24 offset:4000
	ds_store_b32 v0, v14 offset:8000
	;; [unrolled: 1-line block ×3, first 2 shown]
	v_pack_b32_f16 v14, v50, v38
	v_fma_f16 v33, v33, 2.0, -v45
	v_fma_f16 v31, v31, 2.0, -v22
	v_pack_b32_f16 v24, v27, v25
	v_pack_b32_f16 v15, v15, v26
	;; [unrolled: 1-line block ×3, first 2 shown]
	v_fma_f16 v12, v12, 2.0, -v43
	v_fma_f16 v56, v56, 2.0, -v44
	v_pack_b32_f16 v23, v23, v53
	v_fma_f16 v36, v36, 2.0, -v35
	v_fma_f16 v34, v34, 2.0, -v20
	v_pack_b32_f16 v26, v29, v30
	v_pack_b32_f16 v27, v42, v54
	;; [unrolled: 1-line block ×3, first 2 shown]
	ds_store_b32 v6, v14
	ds_store_b32 v6, v24 offset:4000
	ds_store_b32 v6, v15 offset:8000
	;; [unrolled: 1-line block ×3, first 2 shown]
	ds_store_b32 v17, v23
	ds_store_b32 v17, v26 offset:4000
	ds_store_b32 v17, v27 offset:8000
	;; [unrolled: 1-line block ×3, first 2 shown]
	v_pack_b32_f16 v6, v51, v55
	v_pack_b32_f16 v14, v33, v31
	;; [unrolled: 1-line block ×8, first 2 shown]
	ds_store_b32 v19, v6
	ds_store_b32 v19, v14 offset:4000
	ds_store_b32 v19, v15 offset:8000
	;; [unrolled: 1-line block ×3, first 2 shown]
	ds_store_b32 v16, v12
	ds_store_b32 v16, v22 offset:4000
	ds_store_b32 v16, v23 offset:8000
	;; [unrolled: 1-line block ×3, first 2 shown]
	s_waitcnt lgkmcnt(0)
	s_barrier
	buffer_gl0_inv
	ds_load_b32 v6, v0
	v_sub_nc_u32_e32 v20, 0, v4
                                        ; implicit-def: $vgpr23
                                        ; implicit-def: $vgpr22
                                        ; implicit-def: $vgpr21
                                        ; implicit-def: $vgpr14_vgpr15
	v_cmpx_ne_u32_e32 0, v3
	s_xor_b32 s5, exec_lo, s5
	s_cbranch_execz .LBB0_15
; %bb.14:
	v_mov_b32_e32 v4, v13
	s_delay_alu instid0(VALU_DEP_1) | instskip(NEXT) | instid1(VALU_DEP_1)
	v_lshlrev_b64 v[12:13], 2, v[3:4]
	v_add_co_u32 v12, s0, s1, v12
	s_delay_alu instid0(VALU_DEP_1)
	v_add_co_ci_u32_e64 v13, s0, s4, v13, s0
	global_load_b32 v12, v[12:13], off
	ds_load_b32 v13, v20 offset:16000
	s_waitcnt lgkmcnt(0)
	v_pk_add_f16 v14, v6, v13 neg_lo:[0,1] neg_hi:[0,1]
	v_pk_add_f16 v6, v13, v6
	s_delay_alu instid0(VALU_DEP_1) | instskip(SKIP_1) | instid1(VALU_DEP_2)
	v_bfi_b32 v13, 0xffff, v14, v6
	v_bfi_b32 v6, 0xffff, v6, v14
	v_pk_mul_f16 v13, v13, 0.5 op_sel_hi:[1,0]
	s_delay_alu instid0(VALU_DEP_2) | instskip(SKIP_1) | instid1(VALU_DEP_2)
	v_pk_mul_f16 v15, v6, 0.5 op_sel_hi:[1,0]
	s_waitcnt vmcnt(0)
	v_pk_mul_f16 v14, v12, v13 op_sel:[1,0]
	v_pk_mul_f16 v12, v12, v13 op_sel_hi:[0,1]
	s_delay_alu instid0(VALU_DEP_3) | instskip(NEXT) | instid1(VALU_DEP_3)
	v_lshrrev_b32_e32 v13, 16, v15
	v_pk_fma_f16 v6, v6, 0.5, v14 op_sel_hi:[1,0,1]
	v_lshrrev_b32_e32 v21, 16, v14
	v_sub_f16_e32 v14, v15, v14
	v_lshrrev_b32_e32 v15, 16, v12
	s_delay_alu instid0(VALU_DEP_4) | instskip(SKIP_2) | instid1(VALU_DEP_4)
	v_pk_add_f16 v23, v6, v12 op_sel:[0,1] op_sel_hi:[1,0]
	v_pk_add_f16 v6, v6, v12 op_sel:[0,1] op_sel_hi:[1,0] neg_lo:[0,1] neg_hi:[0,1]
	v_sub_f16_e32 v13, v21, v13
	v_sub_f16_e32 v22, v14, v15
	v_dual_mov_b32 v15, v4 :: v_dual_mov_b32 v14, v3
	s_delay_alu instid0(VALU_DEP_4) | instskip(NEXT) | instid1(VALU_DEP_4)
	v_bfi_b32 v23, 0xffff, v23, v6
	v_sub_f16_e32 v21, v13, v12
                                        ; implicit-def: $vgpr6
.LBB0_15:
	s_or_saveexec_b32 s0, s5
	v_mul_i32_i24_e32 v4, 0xffffffdc, v5
	s_xor_b32 exec_lo, exec_lo, s0
	s_cbranch_execz .LBB0_17
; %bb.16:
	v_mov_b32_e32 v21, 0
	s_waitcnt lgkmcnt(0)
	v_lshrrev_b32_e32 v14, 16, v6
	v_alignbit_b32 v13, s0, v6, 16
	s_delay_alu instid0(VALU_DEP_2) | instskip(SKIP_4) | instid1(VALU_DEP_2)
	v_sub_f16_e32 v22, v6, v14
	v_mov_b32_e32 v14, 0
	ds_load_u16 v12, v21 offset:8002
	v_pk_add_f16 v13, v13, v6
	v_mov_b32_e32 v15, 0
	v_pack_b32_f16 v23, v13, 0
	s_waitcnt lgkmcnt(0)
	v_xor_b32_e32 v6, 0x8000, v12
	ds_store_b16 v21, v6 offset:8002
.LBB0_17:
	s_or_b32 exec_lo, exec_lo, s0
	s_waitcnt lgkmcnt(0)
	v_mov_b32_e32 v6, 0
	s_delay_alu instid0(VALU_DEP_1) | instskip(NEXT) | instid1(VALU_DEP_1)
	v_lshlrev_b64 v[12:13], 2, v[5:6]
	v_add_co_u32 v12, s0, s1, v12
	s_delay_alu instid0(VALU_DEP_1) | instskip(SKIP_2) | instid1(VALU_DEP_1)
	v_add_co_ci_u32_e64 v13, s0, s4, v13, s0
	global_load_b32 v13, v[12:13], off
	v_mov_b32_e32 v12, v6
	v_lshlrev_b64 v[11:12], 2, v[11:12]
	s_delay_alu instid0(VALU_DEP_1) | instskip(NEXT) | instid1(VALU_DEP_1)
	v_add_co_u32 v11, s0, s1, v11
	v_add_co_ci_u32_e64 v12, s0, s4, v12, s0
	global_load_b32 v12, v[11:12], off
	v_mov_b32_e32 v11, v6
	s_delay_alu instid0(VALU_DEP_1) | instskip(NEXT) | instid1(VALU_DEP_1)
	v_lshlrev_b64 v[10:11], 2, v[10:11]
	v_add_co_u32 v10, s0, s1, v10
	s_delay_alu instid0(VALU_DEP_1) | instskip(SKIP_2) | instid1(VALU_DEP_1)
	v_add_co_ci_u32_e64 v11, s0, s4, v11, s0
	global_load_b32 v11, v[10:11], off
	v_mov_b32_e32 v10, v6
	v_lshlrev_b64 v[9:10], 2, v[9:10]
	s_delay_alu instid0(VALU_DEP_1) | instskip(NEXT) | instid1(VALU_DEP_1)
	v_add_co_u32 v9, s0, s1, v9
	v_add_co_ci_u32_e64 v10, s0, s4, v10, s0
	global_load_b32 v24, v[9:10], off
	v_lshlrev_b64 v[9:10], 2, v[14:15]
	v_add_nc_u32_e32 v15, v18, v4
	s_delay_alu instid0(VALU_DEP_2) | instskip(NEXT) | instid1(VALU_DEP_1)
	v_add_co_u32 v9, s0, s1, v9
	v_add_co_ci_u32_e64 v10, s0, s4, v10, s0
	s_delay_alu instid0(VALU_DEP_2)
	v_add_co_u32 v4, s0, 0x1000, v9
	global_load_b32 v14, v[9:10], off offset:4000
	v_add_co_ci_u32_e64 v5, s0, 0, v10, s0
	ds_store_b16 v20, v21 offset:16002
	ds_store_b32 v0, v23
	ds_store_b16 v20, v22 offset:16000
	ds_load_b32 v18, v20 offset:15200
	ds_load_b32 v21, v15
	global_load_b32 v9, v[4:5], off offset:704
	s_waitcnt lgkmcnt(0)
	v_pk_add_f16 v10, v21, v18 neg_lo:[0,1] neg_hi:[0,1]
	v_pk_add_f16 v18, v21, v18
	s_delay_alu instid0(VALU_DEP_1) | instskip(SKIP_1) | instid1(VALU_DEP_2)
	v_bfi_b32 v21, 0xffff, v10, v18
	v_bfi_b32 v10, 0xffff, v18, v10
	v_pk_mul_f16 v18, v21, 0.5 op_sel_hi:[1,0]
	s_delay_alu instid0(VALU_DEP_2) | instskip(SKIP_1) | instid1(VALU_DEP_1)
	v_pk_mul_f16 v10, v10, 0.5 op_sel_hi:[1,0]
	s_waitcnt vmcnt(5)
	v_pk_fma_f16 v21, v13, v18, v10 op_sel:[1,0,0]
	v_pk_mul_f16 v22, v13, v18 op_sel_hi:[0,1]
	v_pk_fma_f16 v23, v13, v18, v10 op_sel:[1,0,0] neg_lo:[1,0,0] neg_hi:[1,0,0]
	v_pk_fma_f16 v10, v13, v18, v10 op_sel:[1,0,0] neg_lo:[0,0,1] neg_hi:[0,0,1]
	s_delay_alu instid0(VALU_DEP_3) | instskip(SKIP_1) | instid1(VALU_DEP_4)
	v_pk_add_f16 v13, v21, v22 op_sel:[0,1] op_sel_hi:[1,0]
	v_pk_add_f16 v18, v21, v22 op_sel:[0,1] op_sel_hi:[1,0] neg_lo:[0,1] neg_hi:[0,1]
	v_pk_add_f16 v21, v23, v22 op_sel:[0,1] op_sel_hi:[1,0] neg_lo:[0,1] neg_hi:[0,1]
	s_delay_alu instid0(VALU_DEP_4) | instskip(NEXT) | instid1(VALU_DEP_3)
	v_pk_add_f16 v10, v10, v22 op_sel:[0,1] op_sel_hi:[1,0] neg_lo:[0,1] neg_hi:[0,1]
	v_bfi_b32 v13, 0xffff, v13, v18
	s_delay_alu instid0(VALU_DEP_2)
	v_bfi_b32 v10, 0xffff, v21, v10
	ds_store_b32 v15, v13
	ds_store_b32 v20, v10 offset:15200
	ds_load_b32 v10, v17
	ds_load_b32 v13, v20 offset:14400
	global_load_b32 v15, v[4:5], off offset:1504
	s_waitcnt lgkmcnt(0)
	v_pk_add_f16 v18, v10, v13 neg_lo:[0,1] neg_hi:[0,1]
	v_pk_add_f16 v10, v10, v13
	s_delay_alu instid0(VALU_DEP_1)
	v_bfi_b32 v13, 0xffff, v18, v10
	v_bfi_b32 v10, 0xffff, v10, v18
	s_clause 0x1
	global_load_b32 v18, v[4:5], off offset:2304
	global_load_b32 v4, v[4:5], off offset:3104
	v_pk_mul_f16 v13, v13, 0.5 op_sel_hi:[1,0]
	v_pk_mul_f16 v10, v10, 0.5 op_sel_hi:[1,0]
	s_waitcnt vmcnt(7)
	s_delay_alu instid0(VALU_DEP_2) | instskip(NEXT) | instid1(VALU_DEP_2)
	v_pk_mul_f16 v21, v12, v13 op_sel_hi:[0,1]
	v_pk_fma_f16 v5, v12, v13, v10 op_sel:[1,0,0]
	v_pk_fma_f16 v22, v12, v13, v10 op_sel:[1,0,0] neg_lo:[1,0,0] neg_hi:[1,0,0]
	v_pk_fma_f16 v10, v12, v13, v10 op_sel:[1,0,0] neg_lo:[0,0,1] neg_hi:[0,0,1]
	s_delay_alu instid0(VALU_DEP_3) | instskip(SKIP_1) | instid1(VALU_DEP_4)
	v_pk_add_f16 v12, v5, v21 op_sel:[0,1] op_sel_hi:[1,0]
	v_pk_add_f16 v5, v5, v21 op_sel:[0,1] op_sel_hi:[1,0] neg_lo:[0,1] neg_hi:[0,1]
	v_pk_add_f16 v13, v22, v21 op_sel:[0,1] op_sel_hi:[1,0] neg_lo:[0,1] neg_hi:[0,1]
	s_delay_alu instid0(VALU_DEP_4) | instskip(NEXT) | instid1(VALU_DEP_3)
	v_pk_add_f16 v10, v10, v21 op_sel:[0,1] op_sel_hi:[1,0] neg_lo:[0,1] neg_hi:[0,1]
	v_bfi_b32 v5, 0xffff, v12, v5
	s_delay_alu instid0(VALU_DEP_2)
	v_bfi_b32 v10, 0xffff, v13, v10
	ds_store_b32 v17, v5
	ds_store_b32 v20, v10 offset:14400
	ds_load_b32 v5, v19
	ds_load_b32 v10, v20 offset:13600
	s_waitcnt lgkmcnt(0)
	v_pk_add_f16 v12, v5, v10 neg_lo:[0,1] neg_hi:[0,1]
	v_pk_add_f16 v5, v5, v10
	s_delay_alu instid0(VALU_DEP_1) | instskip(SKIP_1) | instid1(VALU_DEP_2)
	v_bfi_b32 v10, 0xffff, v12, v5
	v_bfi_b32 v5, 0xffff, v5, v12
	v_pk_mul_f16 v10, v10, 0.5 op_sel_hi:[1,0]
	s_delay_alu instid0(VALU_DEP_2) | instskip(SKIP_1) | instid1(VALU_DEP_2)
	v_pk_mul_f16 v5, v5, 0.5 op_sel_hi:[1,0]
	s_waitcnt vmcnt(6)
	v_pk_mul_f16 v13, v11, v10 op_sel_hi:[0,1]
	s_delay_alu instid0(VALU_DEP_2) | instskip(SKIP_2) | instid1(VALU_DEP_3)
	v_pk_fma_f16 v12, v11, v10, v5 op_sel:[1,0,0]
	v_pk_fma_f16 v17, v11, v10, v5 op_sel:[1,0,0] neg_lo:[1,0,0] neg_hi:[1,0,0]
	v_pk_fma_f16 v5, v11, v10, v5 op_sel:[1,0,0] neg_lo:[0,0,1] neg_hi:[0,0,1]
	v_pk_add_f16 v10, v12, v13 op_sel:[0,1] op_sel_hi:[1,0]
	v_pk_add_f16 v11, v12, v13 op_sel:[0,1] op_sel_hi:[1,0] neg_lo:[0,1] neg_hi:[0,1]
	s_delay_alu instid0(VALU_DEP_4) | instskip(NEXT) | instid1(VALU_DEP_4)
	v_pk_add_f16 v12, v17, v13 op_sel:[0,1] op_sel_hi:[1,0] neg_lo:[0,1] neg_hi:[0,1]
	v_pk_add_f16 v5, v5, v13 op_sel:[0,1] op_sel_hi:[1,0] neg_lo:[0,1] neg_hi:[0,1]
	s_delay_alu instid0(VALU_DEP_3) | instskip(NEXT) | instid1(VALU_DEP_2)
	v_bfi_b32 v10, 0xffff, v10, v11
	v_bfi_b32 v5, 0xffff, v12, v5
	ds_store_b32 v19, v10
	ds_store_b32 v20, v5 offset:13600
	ds_load_b32 v5, v16
	ds_load_b32 v10, v20 offset:12800
	s_waitcnt lgkmcnt(0)
	v_pk_add_f16 v11, v5, v10 neg_lo:[0,1] neg_hi:[0,1]
	v_pk_add_f16 v5, v5, v10
	s_delay_alu instid0(VALU_DEP_1) | instskip(SKIP_1) | instid1(VALU_DEP_2)
	v_bfi_b32 v10, 0xffff, v11, v5
	v_bfi_b32 v5, 0xffff, v5, v11
	v_pk_mul_f16 v10, v10, 0.5 op_sel_hi:[1,0]
	s_delay_alu instid0(VALU_DEP_2) | instskip(SKIP_1) | instid1(VALU_DEP_2)
	v_pk_mul_f16 v5, v5, 0.5 op_sel_hi:[1,0]
	s_waitcnt vmcnt(5)
	v_pk_mul_f16 v12, v24, v10 op_sel_hi:[0,1]
	s_delay_alu instid0(VALU_DEP_2) | instskip(SKIP_2) | instid1(VALU_DEP_3)
	v_pk_fma_f16 v11, v24, v10, v5 op_sel:[1,0,0]
	v_pk_fma_f16 v13, v24, v10, v5 op_sel:[1,0,0] neg_lo:[1,0,0] neg_hi:[1,0,0]
	v_pk_fma_f16 v5, v24, v10, v5 op_sel:[1,0,0] neg_lo:[0,0,1] neg_hi:[0,0,1]
	v_pk_add_f16 v10, v11, v12 op_sel:[0,1] op_sel_hi:[1,0]
	v_pk_add_f16 v11, v11, v12 op_sel:[0,1] op_sel_hi:[1,0] neg_lo:[0,1] neg_hi:[0,1]
	s_delay_alu instid0(VALU_DEP_4) | instskip(NEXT) | instid1(VALU_DEP_4)
	v_pk_add_f16 v13, v13, v12 op_sel:[0,1] op_sel_hi:[1,0] neg_lo:[0,1] neg_hi:[0,1]
	v_pk_add_f16 v5, v5, v12 op_sel:[0,1] op_sel_hi:[1,0] neg_lo:[0,1] neg_hi:[0,1]
	s_delay_alu instid0(VALU_DEP_3) | instskip(NEXT) | instid1(VALU_DEP_2)
	v_bfi_b32 v10, 0xffff, v10, v11
	v_bfi_b32 v5, 0xffff, v13, v5
	ds_store_b32 v16, v10
	ds_store_b32 v20, v5 offset:12800
	ds_load_b32 v5, v0 offset:4000
	ds_load_b32 v10, v20 offset:12000
	s_waitcnt lgkmcnt(0)
	v_pk_add_f16 v11, v5, v10 neg_lo:[0,1] neg_hi:[0,1]
	v_pk_add_f16 v5, v5, v10
	s_delay_alu instid0(VALU_DEP_1) | instskip(SKIP_1) | instid1(VALU_DEP_2)
	v_bfi_b32 v10, 0xffff, v11, v5
	v_bfi_b32 v5, 0xffff, v5, v11
	v_pk_mul_f16 v10, v10, 0.5 op_sel_hi:[1,0]
	s_delay_alu instid0(VALU_DEP_2) | instskip(SKIP_1) | instid1(VALU_DEP_2)
	v_pk_mul_f16 v11, v5, 0.5 op_sel_hi:[1,0]
	s_waitcnt vmcnt(4)
	v_pk_mul_f16 v12, v14, v10 op_sel:[1,0]
	v_pk_mul_f16 v10, v14, v10 op_sel_hi:[0,1]
	s_delay_alu instid0(VALU_DEP_3) | instskip(NEXT) | instid1(VALU_DEP_3)
	v_lshrrev_b32_e32 v13, 16, v11
	v_lshrrev_b32_e32 v14, 16, v12
	v_pk_fma_f16 v5, v5, 0.5, v12 op_sel_hi:[1,0,1]
	v_sub_f16_e32 v11, v11, v12
	s_delay_alu instid0(VALU_DEP_3) | instskip(NEXT) | instid1(VALU_DEP_3)
	v_sub_f16_e32 v13, v14, v13
	v_pk_add_f16 v12, v5, v10 op_sel:[0,1] op_sel_hi:[1,0]
	v_pk_add_f16 v5, v5, v10 op_sel:[0,1] op_sel_hi:[1,0] neg_lo:[0,1] neg_hi:[0,1]
	v_lshrrev_b32_e32 v14, 16, v10
	s_delay_alu instid0(VALU_DEP_4) | instskip(NEXT) | instid1(VALU_DEP_3)
	v_sub_f16_e32 v10, v13, v10
	v_bfi_b32 v5, 0xffff, v12, v5
	s_delay_alu instid0(VALU_DEP_3)
	v_sub_f16_e32 v11, v11, v14
	ds_store_b16 v20, v10 offset:12002
	ds_store_b32 v0, v5 offset:4000
	ds_store_b16 v20, v11 offset:12000
	ds_load_b32 v5, v0 offset:4800
	ds_load_b32 v10, v20 offset:11200
	s_waitcnt lgkmcnt(0)
	v_pk_add_f16 v11, v5, v10 neg_lo:[0,1] neg_hi:[0,1]
	v_pk_add_f16 v5, v5, v10
	s_delay_alu instid0(VALU_DEP_1) | instskip(SKIP_1) | instid1(VALU_DEP_2)
	v_bfi_b32 v10, 0xffff, v11, v5
	v_bfi_b32 v5, 0xffff, v5, v11
	v_pk_mul_f16 v10, v10, 0.5 op_sel_hi:[1,0]
	s_delay_alu instid0(VALU_DEP_2) | instskip(SKIP_1) | instid1(VALU_DEP_2)
	v_pk_mul_f16 v11, v5, 0.5 op_sel_hi:[1,0]
	s_waitcnt vmcnt(3)
	v_pk_mul_f16 v12, v9, v10 op_sel:[1,0]
	v_pk_mul_f16 v9, v9, v10 op_sel_hi:[0,1]
	s_delay_alu instid0(VALU_DEP_3) | instskip(NEXT) | instid1(VALU_DEP_3)
	v_lshrrev_b32_e32 v10, 16, v11
	v_lshrrev_b32_e32 v13, 16, v12
	v_pk_fma_f16 v5, v5, 0.5, v12 op_sel_hi:[1,0,1]
	v_sub_f16_e32 v11, v11, v12
	s_delay_alu instid0(VALU_DEP_3) | instskip(NEXT) | instid1(VALU_DEP_3)
	v_sub_f16_e32 v10, v13, v10
	v_pk_add_f16 v12, v5, v9 op_sel:[0,1] op_sel_hi:[1,0]
	v_pk_add_f16 v5, v5, v9 op_sel:[0,1] op_sel_hi:[1,0] neg_lo:[0,1] neg_hi:[0,1]
	v_lshrrev_b32_e32 v13, 16, v9
	s_delay_alu instid0(VALU_DEP_4) | instskip(NEXT) | instid1(VALU_DEP_3)
	v_sub_f16_e32 v9, v10, v9
	v_bfi_b32 v5, 0xffff, v12, v5
	s_delay_alu instid0(VALU_DEP_3)
	v_sub_f16_e32 v10, v11, v13
	ds_store_b16 v20, v9 offset:11202
	ds_store_b32 v0, v5 offset:4800
	ds_store_b16 v20, v10 offset:11200
	ds_load_b32 v5, v0 offset:5600
	ds_load_b32 v9, v20 offset:10400
	s_waitcnt lgkmcnt(0)
	v_pk_add_f16 v10, v5, v9 neg_lo:[0,1] neg_hi:[0,1]
	v_pk_add_f16 v5, v5, v9
	s_delay_alu instid0(VALU_DEP_1) | instskip(SKIP_1) | instid1(VALU_DEP_2)
	v_bfi_b32 v9, 0xffff, v10, v5
	v_bfi_b32 v5, 0xffff, v5, v10
	v_pk_mul_f16 v9, v9, 0.5 op_sel_hi:[1,0]
	s_delay_alu instid0(VALU_DEP_2) | instskip(NEXT) | instid1(VALU_DEP_1)
	v_pk_mul_f16 v10, v5, 0.5 op_sel_hi:[1,0]
	v_lshrrev_b32_e32 v12, 16, v10
	s_waitcnt vmcnt(2)
	s_delay_alu instid0(VALU_DEP_3) | instskip(SKIP_1) | instid1(VALU_DEP_2)
	v_pk_mul_f16 v11, v15, v9 op_sel:[1,0]
	v_pk_mul_f16 v9, v15, v9 op_sel_hi:[0,1]
	v_lshrrev_b32_e32 v13, 16, v11
	v_pk_fma_f16 v5, v5, 0.5, v11 op_sel_hi:[1,0,1]
	v_sub_f16_e32 v10, v10, v11
	s_delay_alu instid0(VALU_DEP_3) | instskip(NEXT) | instid1(VALU_DEP_3)
	v_sub_f16_e32 v12, v13, v12
	v_pk_add_f16 v11, v5, v9 op_sel:[0,1] op_sel_hi:[1,0]
	v_pk_add_f16 v5, v5, v9 op_sel:[0,1] op_sel_hi:[1,0] neg_lo:[0,1] neg_hi:[0,1]
	v_lshrrev_b32_e32 v13, 16, v9
	s_delay_alu instid0(VALU_DEP_4) | instskip(NEXT) | instid1(VALU_DEP_3)
	v_sub_f16_e32 v9, v12, v9
	v_bfi_b32 v5, 0xffff, v11, v5
	s_delay_alu instid0(VALU_DEP_3)
	v_sub_f16_e32 v10, v10, v13
	ds_store_b16 v20, v9 offset:10402
	ds_store_b32 v0, v5 offset:5600
	ds_store_b16 v20, v10 offset:10400
	ds_load_b32 v5, v0 offset:6400
	ds_load_b32 v9, v20 offset:9600
	s_waitcnt lgkmcnt(0)
	v_pk_add_f16 v10, v5, v9 neg_lo:[0,1] neg_hi:[0,1]
	v_pk_add_f16 v5, v5, v9
	s_delay_alu instid0(VALU_DEP_1) | instskip(SKIP_1) | instid1(VALU_DEP_2)
	v_bfi_b32 v9, 0xffff, v10, v5
	v_bfi_b32 v5, 0xffff, v5, v10
	v_pk_mul_f16 v9, v9, 0.5 op_sel_hi:[1,0]
	s_delay_alu instid0(VALU_DEP_2) | instskip(SKIP_1) | instid1(VALU_DEP_2)
	v_pk_mul_f16 v10, v5, 0.5 op_sel_hi:[1,0]
	s_waitcnt vmcnt(1)
	v_pk_mul_f16 v11, v18, v9 op_sel:[1,0]
	s_delay_alu instid0(VALU_DEP_2) | instskip(SKIP_1) | instid1(VALU_DEP_3)
	v_lshrrev_b32_e32 v12, 16, v10
	v_pk_mul_f16 v9, v18, v9 op_sel_hi:[0,1]
	v_lshrrev_b32_e32 v13, 16, v11
	v_pk_fma_f16 v5, v5, 0.5, v11 op_sel_hi:[1,0,1]
	v_sub_f16_e32 v10, v10, v11
	s_delay_alu instid0(VALU_DEP_3) | instskip(NEXT) | instid1(VALU_DEP_3)
	v_sub_f16_e32 v12, v13, v12
	v_pk_add_f16 v11, v5, v9 op_sel:[0,1] op_sel_hi:[1,0]
	v_pk_add_f16 v5, v5, v9 op_sel:[0,1] op_sel_hi:[1,0] neg_lo:[0,1] neg_hi:[0,1]
	v_lshrrev_b32_e32 v13, 16, v9
	s_delay_alu instid0(VALU_DEP_4) | instskip(NEXT) | instid1(VALU_DEP_3)
	v_sub_f16_e32 v9, v12, v9
	v_bfi_b32 v5, 0xffff, v11, v5
	s_delay_alu instid0(VALU_DEP_3)
	v_sub_f16_e32 v10, v10, v13
	ds_store_b16 v20, v9 offset:9602
	ds_store_b32 v0, v5 offset:6400
	ds_store_b16 v20, v10 offset:9600
	ds_load_b32 v5, v0 offset:7200
	ds_load_b32 v9, v20 offset:8800
	s_waitcnt lgkmcnt(0)
	v_pk_add_f16 v10, v5, v9 neg_lo:[0,1] neg_hi:[0,1]
	v_pk_add_f16 v5, v5, v9
	s_delay_alu instid0(VALU_DEP_1) | instskip(SKIP_1) | instid1(VALU_DEP_2)
	v_bfi_b32 v9, 0xffff, v10, v5
	v_bfi_b32 v5, 0xffff, v5, v10
	v_pk_mul_f16 v9, v9, 0.5 op_sel_hi:[1,0]
	s_delay_alu instid0(VALU_DEP_2) | instskip(SKIP_1) | instid1(VALU_DEP_2)
	v_pk_mul_f16 v5, v5, 0.5 op_sel_hi:[1,0]
	s_waitcnt vmcnt(0)
	v_pk_mul_f16 v11, v4, v9 op_sel_hi:[0,1]
	s_delay_alu instid0(VALU_DEP_2) | instskip(SKIP_2) | instid1(VALU_DEP_3)
	v_pk_fma_f16 v10, v4, v9, v5 op_sel:[1,0,0]
	v_pk_fma_f16 v12, v4, v9, v5 op_sel:[1,0,0] neg_lo:[1,0,0] neg_hi:[1,0,0]
	v_pk_fma_f16 v4, v4, v9, v5 op_sel:[1,0,0] neg_lo:[0,0,1] neg_hi:[0,0,1]
	v_pk_add_f16 v5, v10, v11 op_sel:[0,1] op_sel_hi:[1,0]
	v_pk_add_f16 v9, v10, v11 op_sel:[0,1] op_sel_hi:[1,0] neg_lo:[0,1] neg_hi:[0,1]
	s_delay_alu instid0(VALU_DEP_4) | instskip(NEXT) | instid1(VALU_DEP_4)
	v_pk_add_f16 v10, v12, v11 op_sel:[0,1] op_sel_hi:[1,0] neg_lo:[0,1] neg_hi:[0,1]
	v_pk_add_f16 v4, v4, v11 op_sel:[0,1] op_sel_hi:[1,0] neg_lo:[0,1] neg_hi:[0,1]
	s_delay_alu instid0(VALU_DEP_3) | instskip(NEXT) | instid1(VALU_DEP_2)
	v_bfi_b32 v5, 0xffff, v5, v9
	v_bfi_b32 v4, 0xffff, v10, v4
	ds_store_b32 v0, v5 offset:7200
	ds_store_b32 v20, v4 offset:8800
	s_waitcnt lgkmcnt(0)
	s_barrier
	buffer_gl0_inv
	s_and_saveexec_b32 s0, vcc_lo
	s_cbranch_execz .LBB0_20
; %bb.18:
	v_mul_lo_u32 v0, s3, v7
	v_mul_lo_u32 v4, s2, v8
	v_mad_u64_u32 v[8:9], null, s2, v7, 0
	v_lshl_add_u32 v34, v3, 2, 0
	v_add_nc_u32_e32 v5, 0xc8, v3
	ds_load_2addr_b32 v[10:11], v34 offset1:200
	v_add3_u32 v9, v9, v4, v0
	v_mov_b32_e32 v4, v6
	v_lshlrev_b64 v[0:1], 2, v[1:2]
	v_lshlrev_b64 v[14:15], 2, v[5:6]
	v_add_nc_u32_e32 v5, 0x190, v3
	v_lshlrev_b64 v[7:8], 2, v[8:9]
	v_lshlrev_b64 v[12:13], 2, v[3:4]
	v_add_nc_u32_e32 v2, 0x600, v34
	s_delay_alu instid0(VALU_DEP_3) | instskip(NEXT) | instid1(VALU_DEP_4)
	v_add_co_u32 v4, vcc_lo, s6, v7
	v_add_co_ci_u32_e32 v9, vcc_lo, s7, v8, vcc_lo
	v_lshlrev_b64 v[7:8], 2, v[5:6]
	v_add_nc_u32_e32 v5, 0x258, v3
	s_delay_alu instid0(VALU_DEP_4) | instskip(NEXT) | instid1(VALU_DEP_4)
	v_add_co_u32 v0, vcc_lo, v4, v0
	v_add_co_ci_u32_e32 v1, vcc_lo, v9, v1, vcc_lo
	s_delay_alu instid0(VALU_DEP_3)
	v_lshlrev_b64 v[18:19], 2, v[5:6]
	v_add_nc_u32_e32 v5, 0x320, v3
	ds_load_2addr_b32 v[16:17], v2 offset0:16 offset1:216
	v_add_nc_u32_e32 v2, 0xc00, v34
	v_add_co_u32 v12, vcc_lo, v0, v12
	v_lshlrev_b64 v[20:21], 2, v[5:6]
	v_add_nc_u32_e32 v5, 0x3e8, v3
	v_add_co_ci_u32_e32 v13, vcc_lo, v1, v13, vcc_lo
	v_add_co_u32 v14, vcc_lo, v0, v14
	s_delay_alu instid0(VALU_DEP_3)
	v_lshlrev_b64 v[24:25], 2, v[5:6]
	v_add_nc_u32_e32 v5, 0x4b0, v3
	ds_load_2addr_b32 v[22:23], v2 offset0:32 offset1:232
	v_add_nc_u32_e32 v2, 0x1200, v34
	v_add_co_ci_u32_e32 v15, vcc_lo, v1, v15, vcc_lo
	v_add_co_u32 v7, vcc_lo, v0, v7
	v_add_co_ci_u32_e32 v8, vcc_lo, v1, v8, vcc_lo
	v_lshlrev_b64 v[26:27], 2, v[5:6]
	v_add_nc_u32_e32 v5, 0x578, v3
	v_add_co_u32 v18, vcc_lo, v0, v18
	ds_load_2addr_b32 v[28:29], v2 offset0:48 offset1:248
	v_add_co_ci_u32_e32 v19, vcc_lo, v1, v19, vcc_lo
	v_add_co_u32 v20, vcc_lo, v0, v20
	v_lshlrev_b64 v[30:31], 2, v[5:6]
	v_add_nc_u32_e32 v5, 0x640, v3
	v_add_co_ci_u32_e32 v21, vcc_lo, v1, v21, vcc_lo
	v_add_co_u32 v24, vcc_lo, v0, v24
	v_add_co_ci_u32_e32 v25, vcc_lo, v1, v25, vcc_lo
	v_add_co_u32 v26, vcc_lo, v0, v26
	v_lshlrev_b64 v[32:33], 2, v[5:6]
	v_add_nc_u32_e32 v5, 0x708, v3
	v_add_co_ci_u32_e32 v27, vcc_lo, v1, v27, vcc_lo
	v_add_co_u32 v30, vcc_lo, v0, v30
	v_add_co_ci_u32_e32 v31, vcc_lo, v1, v31, vcc_lo
	s_waitcnt lgkmcnt(3)
	s_clause 0x1
	global_store_b32 v[12:13], v10, off
	global_store_b32 v[14:15], v11, off
	s_waitcnt lgkmcnt(2)
	s_clause 0x1
	global_store_b32 v[7:8], v16, off
	global_store_b32 v[18:19], v17, off
	;; [unrolled: 4-line block ×4, first 2 shown]
	v_lshlrev_b64 v[9:10], 2, v[5:6]
	v_add_nc_u32_e32 v5, 0x7d0, v3
	v_add_nc_u32_e32 v2, 0x1900, v34
	v_add_co_u32 v11, vcc_lo, v0, v32
	v_add_co_ci_u32_e32 v12, vcc_lo, v1, v33, vcc_lo
	s_delay_alu instid0(VALU_DEP_4)
	v_lshlrev_b64 v[13:14], 2, v[5:6]
	v_add_nc_u32_e32 v5, 0x898, v3
	ds_load_2addr_b32 v[7:8], v2 offset1:200
	v_add_nc_u32_e32 v2, 0x1f00, v34
	v_add_co_u32 v9, vcc_lo, v0, v9
	v_lshlrev_b64 v[17:18], 2, v[5:6]
	v_add_nc_u32_e32 v5, 0x960, v3
	ds_load_2addr_b32 v[15:16], v2 offset0:16 offset1:216
	v_add_nc_u32_e32 v2, 0x2500, v34
	v_add_co_ci_u32_e32 v10, vcc_lo, v1, v10, vcc_lo
	v_lshlrev_b64 v[19:20], 2, v[5:6]
	v_add_nc_u32_e32 v5, 0xa28, v3
	ds_load_2addr_b32 v[21:22], v2 offset0:32 offset1:232
	v_add_nc_u32_e32 v2, 0x2b00, v34
	v_add_co_u32 v13, vcc_lo, v0, v13
	v_lshlrev_b64 v[23:24], 2, v[5:6]
	v_add_nc_u32_e32 v5, 0xaf0, v3
	v_add_co_ci_u32_e32 v14, vcc_lo, v1, v14, vcc_lo
	v_add_co_u32 v17, vcc_lo, v0, v17
	s_delay_alu instid0(VALU_DEP_3)
	v_lshlrev_b64 v[25:26], 2, v[5:6]
	v_add_nc_u32_e32 v5, 0xbb8, v3
	ds_load_2addr_b32 v[27:28], v2 offset0:48 offset1:248
	v_add_co_ci_u32_e32 v18, vcc_lo, v1, v18, vcc_lo
	v_add_co_u32 v19, vcc_lo, v0, v19
	v_lshlrev_b64 v[29:30], 2, v[5:6]
	v_add_nc_u32_e32 v5, 0xc80, v3
	v_add_co_ci_u32_e32 v20, vcc_lo, v1, v20, vcc_lo
	v_add_co_u32 v23, vcc_lo, v0, v23
	v_add_co_ci_u32_e32 v24, vcc_lo, v1, v24, vcc_lo
	v_add_co_u32 v25, vcc_lo, v0, v25
	v_lshlrev_b64 v[31:32], 2, v[5:6]
	v_add_nc_u32_e32 v5, 0xd48, v3
	v_add_co_ci_u32_e32 v26, vcc_lo, v1, v26, vcc_lo
	v_add_co_u32 v29, vcc_lo, v0, v29
	v_add_nc_u32_e32 v2, 0x3200, v34
	v_add_co_ci_u32_e32 v30, vcc_lo, v1, v30, vcc_lo
	s_waitcnt lgkmcnt(3)
	s_clause 0x1
	global_store_b32 v[11:12], v7, off
	global_store_b32 v[9:10], v8, off
	s_waitcnt lgkmcnt(2)
	s_clause 0x1
	global_store_b32 v[13:14], v15, off
	global_store_b32 v[17:18], v16, off
	;; [unrolled: 4-line block ×4, first 2 shown]
	v_lshlrev_b64 v[9:10], 2, v[5:6]
	v_add_nc_u32_e32 v5, 0xe10, v3
	v_add_nc_u32_e32 v4, 0x3800, v34
	ds_load_2addr_b32 v[7:8], v2 offset1:200
	v_add_co_u32 v13, vcc_lo, v0, v31
	v_lshlrev_b64 v[15:16], 2, v[5:6]
	v_add_nc_u32_e32 v5, 0xed8, v3
	ds_load_2addr_b32 v[11:12], v4 offset0:16 offset1:216
	v_add_co_ci_u32_e32 v14, vcc_lo, v1, v32, vcc_lo
	v_add_co_u32 v9, vcc_lo, v0, v9
	v_lshlrev_b64 v[4:5], 2, v[5:6]
	v_add_co_ci_u32_e32 v10, vcc_lo, v1, v10, vcc_lo
	v_add_co_u32 v15, vcc_lo, v0, v15
	v_add_co_ci_u32_e32 v16, vcc_lo, v1, v16, vcc_lo
	s_delay_alu instid0(VALU_DEP_4)
	v_add_co_u32 v4, vcc_lo, v0, v4
	v_add_co_ci_u32_e32 v5, vcc_lo, v1, v5, vcc_lo
	v_cmp_eq_u32_e32 vcc_lo, 0xc7, v3
	s_waitcnt lgkmcnt(1)
	s_clause 0x1
	global_store_b32 v[13:14], v7, off
	global_store_b32 v[9:10], v8, off
	s_waitcnt lgkmcnt(0)
	s_clause 0x1
	global_store_b32 v[15:16], v11, off
	global_store_b32 v[4:5], v12, off
	s_and_b32 exec_lo, exec_lo, vcc_lo
	s_cbranch_execz .LBB0_20
; %bb.19:
	v_mov_b32_e32 v2, 0
	v_add_co_u32 v0, vcc_lo, 0x3000, v0
	v_add_co_ci_u32_e32 v1, vcc_lo, 0, v1, vcc_lo
	ds_load_b32 v2, v2 offset:16000
	s_waitcnt lgkmcnt(0)
	global_store_b32 v[0:1], v2, off offset:3712
.LBB0_20:
	s_nop 0
	s_sendmsg sendmsg(MSG_DEALLOC_VGPRS)
	s_endpgm
	.section	.rodata,"a",@progbits
	.p2align	6, 0x0
	.amdhsa_kernel fft_rtc_fwd_len4000_factors_10_10_10_4_wgs_200_tpt_200_halfLds_half_op_CI_CI_unitstride_sbrr_R2C_dirReg
		.amdhsa_group_segment_fixed_size 0
		.amdhsa_private_segment_fixed_size 0
		.amdhsa_kernarg_size 104
		.amdhsa_user_sgpr_count 15
		.amdhsa_user_sgpr_dispatch_ptr 0
		.amdhsa_user_sgpr_queue_ptr 0
		.amdhsa_user_sgpr_kernarg_segment_ptr 1
		.amdhsa_user_sgpr_dispatch_id 0
		.amdhsa_user_sgpr_private_segment_size 0
		.amdhsa_wavefront_size32 1
		.amdhsa_uses_dynamic_stack 0
		.amdhsa_enable_private_segment 0
		.amdhsa_system_sgpr_workgroup_id_x 1
		.amdhsa_system_sgpr_workgroup_id_y 0
		.amdhsa_system_sgpr_workgroup_id_z 0
		.amdhsa_system_sgpr_workgroup_info 0
		.amdhsa_system_vgpr_workitem_id 0
		.amdhsa_next_free_vgpr 90
		.amdhsa_next_free_sgpr 27
		.amdhsa_reserve_vcc 1
		.amdhsa_float_round_mode_32 0
		.amdhsa_float_round_mode_16_64 0
		.amdhsa_float_denorm_mode_32 3
		.amdhsa_float_denorm_mode_16_64 3
		.amdhsa_dx10_clamp 1
		.amdhsa_ieee_mode 1
		.amdhsa_fp16_overflow 0
		.amdhsa_workgroup_processor_mode 1
		.amdhsa_memory_ordered 1
		.amdhsa_forward_progress 0
		.amdhsa_shared_vgpr_count 0
		.amdhsa_exception_fp_ieee_invalid_op 0
		.amdhsa_exception_fp_denorm_src 0
		.amdhsa_exception_fp_ieee_div_zero 0
		.amdhsa_exception_fp_ieee_overflow 0
		.amdhsa_exception_fp_ieee_underflow 0
		.amdhsa_exception_fp_ieee_inexact 0
		.amdhsa_exception_int_div_zero 0
	.end_amdhsa_kernel
	.text
.Lfunc_end0:
	.size	fft_rtc_fwd_len4000_factors_10_10_10_4_wgs_200_tpt_200_halfLds_half_op_CI_CI_unitstride_sbrr_R2C_dirReg, .Lfunc_end0-fft_rtc_fwd_len4000_factors_10_10_10_4_wgs_200_tpt_200_halfLds_half_op_CI_CI_unitstride_sbrr_R2C_dirReg
                                        ; -- End function
	.section	.AMDGPU.csdata,"",@progbits
; Kernel info:
; codeLenInByte = 15508
; NumSgprs: 29
; NumVgprs: 90
; ScratchSize: 0
; MemoryBound: 0
; FloatMode: 240
; IeeeMode: 1
; LDSByteSize: 0 bytes/workgroup (compile time only)
; SGPRBlocks: 3
; VGPRBlocks: 11
; NumSGPRsForWavesPerEU: 29
; NumVGPRsForWavesPerEU: 90
; Occupancy: 16
; WaveLimiterHint : 1
; COMPUTE_PGM_RSRC2:SCRATCH_EN: 0
; COMPUTE_PGM_RSRC2:USER_SGPR: 15
; COMPUTE_PGM_RSRC2:TRAP_HANDLER: 0
; COMPUTE_PGM_RSRC2:TGID_X_EN: 1
; COMPUTE_PGM_RSRC2:TGID_Y_EN: 0
; COMPUTE_PGM_RSRC2:TGID_Z_EN: 0
; COMPUTE_PGM_RSRC2:TIDIG_COMP_CNT: 0
	.text
	.p2alignl 7, 3214868480
	.fill 96, 4, 3214868480
	.type	__hip_cuid_8782e6debf1f9f74,@object ; @__hip_cuid_8782e6debf1f9f74
	.section	.bss,"aw",@nobits
	.globl	__hip_cuid_8782e6debf1f9f74
__hip_cuid_8782e6debf1f9f74:
	.byte	0                               ; 0x0
	.size	__hip_cuid_8782e6debf1f9f74, 1

	.ident	"AMD clang version 19.0.0git (https://github.com/RadeonOpenCompute/llvm-project roc-6.4.0 25133 c7fe45cf4b819c5991fe208aaa96edf142730f1d)"
	.section	".note.GNU-stack","",@progbits
	.addrsig
	.addrsig_sym __hip_cuid_8782e6debf1f9f74
	.amdgpu_metadata
---
amdhsa.kernels:
  - .args:
      - .actual_access:  read_only
        .address_space:  global
        .offset:         0
        .size:           8
        .value_kind:     global_buffer
      - .offset:         8
        .size:           8
        .value_kind:     by_value
      - .actual_access:  read_only
        .address_space:  global
        .offset:         16
        .size:           8
        .value_kind:     global_buffer
      - .actual_access:  read_only
        .address_space:  global
        .offset:         24
        .size:           8
        .value_kind:     global_buffer
      - .actual_access:  read_only
        .address_space:  global
        .offset:         32
        .size:           8
        .value_kind:     global_buffer
      - .offset:         40
        .size:           8
        .value_kind:     by_value
      - .actual_access:  read_only
        .address_space:  global
        .offset:         48
        .size:           8
        .value_kind:     global_buffer
      - .actual_access:  read_only
        .address_space:  global
        .offset:         56
        .size:           8
        .value_kind:     global_buffer
      - .offset:         64
        .size:           4
        .value_kind:     by_value
      - .actual_access:  read_only
        .address_space:  global
        .offset:         72
        .size:           8
        .value_kind:     global_buffer
      - .actual_access:  read_only
        .address_space:  global
        .offset:         80
        .size:           8
        .value_kind:     global_buffer
      - .actual_access:  read_only
        .address_space:  global
        .offset:         88
        .size:           8
        .value_kind:     global_buffer
      - .actual_access:  write_only
        .address_space:  global
        .offset:         96
        .size:           8
        .value_kind:     global_buffer
    .group_segment_fixed_size: 0
    .kernarg_segment_align: 8
    .kernarg_segment_size: 104
    .language:       OpenCL C
    .language_version:
      - 2
      - 0
    .max_flat_workgroup_size: 200
    .name:           fft_rtc_fwd_len4000_factors_10_10_10_4_wgs_200_tpt_200_halfLds_half_op_CI_CI_unitstride_sbrr_R2C_dirReg
    .private_segment_fixed_size: 0
    .sgpr_count:     29
    .sgpr_spill_count: 0
    .symbol:         fft_rtc_fwd_len4000_factors_10_10_10_4_wgs_200_tpt_200_halfLds_half_op_CI_CI_unitstride_sbrr_R2C_dirReg.kd
    .uniform_work_group_size: 1
    .uses_dynamic_stack: false
    .vgpr_count:     90
    .vgpr_spill_count: 0
    .wavefront_size: 32
    .workgroup_processor_mode: 1
amdhsa.target:   amdgcn-amd-amdhsa--gfx1100
amdhsa.version:
  - 1
  - 2
...

	.end_amdgpu_metadata
